;; amdgpu-corpus repo=ROCm/rocFFT kind=compiled arch=gfx950 opt=O3
	.text
	.amdgcn_target "amdgcn-amd-amdhsa--gfx950"
	.amdhsa_code_object_version 6
	.protected	fft_rtc_back_len169_factors_13_13_wgs_156_tpt_13_sp_op_CI_CI_sbcc ; -- Begin function fft_rtc_back_len169_factors_13_13_wgs_156_tpt_13_sp_op_CI_CI_sbcc
	.globl	fft_rtc_back_len169_factors_13_13_wgs_156_tpt_13_sp_op_CI_CI_sbcc
	.p2align	8
	.type	fft_rtc_back_len169_factors_13_13_wgs_156_tpt_13_sp_op_CI_CI_sbcc,@function
fft_rtc_back_len169_factors_13_13_wgs_156_tpt_13_sp_op_CI_CI_sbcc: ; @fft_rtc_back_len169_factors_13_13_wgs_156_tpt_13_sp_op_CI_CI_sbcc
; %bb.0:
	s_load_dwordx4 s[16:19], s[0:1], 0x18
	s_load_dwordx2 s[30:31], s[0:1], 0x28
	s_mov_b32 s3, 0
	s_mov_b64 s[22:23], 0
	s_waitcnt lgkmcnt(0)
	s_load_dwordx2 s[28:29], s[16:17], 0x8
	s_waitcnt lgkmcnt(0)
	s_add_u32 s4, s28, -1
	s_addc_u32 s5, s29, -1
	s_add_u32 s6, 0, 0x55540000
	s_addc_u32 s7, 0, 0x55
	s_mul_hi_u32 s9, s6, -12
	s_add_i32 s7, s7, 0x15555500
	s_sub_i32 s9, s9, s6
	s_mul_i32 s12, s7, -12
	s_mul_i32 s8, s6, -12
	s_add_i32 s9, s9, s12
	s_mul_hi_u32 s10, s7, s8
	s_mul_i32 s11, s7, s8
	s_mul_i32 s13, s6, s9
	s_mul_hi_u32 s8, s6, s8
	s_mul_hi_u32 s12, s6, s9
	s_add_u32 s8, s8, s13
	s_addc_u32 s12, 0, s12
	s_add_u32 s8, s8, s11
	s_mul_hi_u32 s13, s7, s9
	s_addc_u32 s8, s12, s10
	s_addc_u32 s10, s13, 0
	s_mul_i32 s9, s7, s9
	s_add_u32 s8, s8, s9
	v_mov_b32_e32 v1, s8
	s_addc_u32 s9, 0, s10
	v_add_co_u32_e32 v1, vcc, s6, v1
	s_cmp_lg_u64 vcc, 0
	s_addc_u32 s6, s7, s9
	v_readfirstlane_b32 s9, v1
	s_mul_i32 s8, s4, s6
	s_mul_hi_u32 s10, s4, s9
	s_mul_hi_u32 s7, s4, s6
	s_add_u32 s8, s10, s8
	s_addc_u32 s7, 0, s7
	s_mul_hi_u32 s11, s5, s9
	s_mul_i32 s9, s5, s9
	s_add_u32 s8, s8, s9
	s_mul_hi_u32 s10, s5, s6
	s_addc_u32 s7, s7, s11
	s_addc_u32 s8, s10, 0
	s_mul_i32 s6, s5, s6
	s_add_u32 s6, s7, s6
	s_addc_u32 s7, 0, s8
	s_add_u32 s8, s6, 1
	s_addc_u32 s9, s7, 0
	s_add_u32 s10, s6, 2
	s_mul_i32 s12, s7, 12
	s_mul_hi_u32 s13, s6, 12
	s_addc_u32 s11, s7, 0
	s_add_i32 s13, s13, s12
	s_mul_i32 s12, s6, 12
	v_mov_b32_e32 v1, s12
	v_sub_co_u32_e32 v1, vcc, s4, v1
	s_cmp_lg_u64 vcc, 0
	s_subb_u32 s4, s5, s13
	v_subrev_co_u32_e32 v2, vcc, 12, v1
	s_cmp_lg_u64 vcc, 0
	s_subb_u32 s5, s4, 0
	v_readfirstlane_b32 s12, v2
	s_cmp_gt_u32 s12, 11
	s_cselect_b32 s12, -1, 0
	s_cmp_eq_u32 s5, 0
	s_cselect_b32 s5, s12, -1
	s_cmp_lg_u32 s5, 0
	s_cselect_b32 s5, s10, s8
	s_cselect_b32 s8, s11, s9
	v_readfirstlane_b32 s9, v1
	s_cmp_gt_u32 s9, 11
	s_cselect_b32 s9, -1, 0
	s_cmp_eq_u32 s4, 0
	s_cselect_b32 s4, s9, -1
	s_cmp_lg_u32 s4, 0
	s_cselect_b32 s5, s5, s6
	s_cselect_b32 s4, s8, s7
	s_add_u32 s36, s5, 1
	s_addc_u32 s37, s4, 0
	v_mov_b64_e32 v[2:3], s[36:37]
	v_cmp_lt_u64_e32 vcc, s[2:3], v[2:3]
	s_cbranch_vccnz .LBB0_2
; %bb.1:
	v_cvt_f32_u32_e32 v1, s36
	s_sub_i32 s4, 0, s36
	s_mov_b32 s23, s3
	v_rcp_iflag_f32_e32 v1, v1
	s_nop 0
	v_mul_f32_e32 v1, 0x4f7ffffe, v1
	v_cvt_u32_f32_e32 v1, v1
	s_nop 0
	v_readfirstlane_b32 s5, v1
	s_mul_i32 s4, s4, s5
	s_mul_hi_u32 s4, s5, s4
	s_add_i32 s5, s5, s4
	s_mul_hi_u32 s4, s2, s5
	s_mul_i32 s6, s4, s36
	s_sub_i32 s6, s2, s6
	s_add_i32 s5, s4, 1
	s_sub_i32 s7, s6, s36
	s_cmp_ge_u32 s6, s36
	s_cselect_b32 s4, s5, s4
	s_cselect_b32 s6, s7, s6
	s_add_i32 s5, s4, 1
	s_cmp_ge_u32 s6, s36
	s_cselect_b32 s22, s5, s4
.LBB0_2:
	s_load_dwordx4 s[8:11], s[0:1], 0x60
	s_load_dwordx4 s[12:15], s[18:19], 0x0
	;; [unrolled: 1-line block ×3, first 2 shown]
	s_load_dwordx2 s[24:25], s[0:1], 0x0
	s_load_dwordx2 s[38:39], s[0:1], 0x10
	s_mul_i32 s0, s22, s37
	s_mul_hi_u32 s1, s22, s36
	s_add_i32 s1, s1, s0
	s_mul_i32 s0, s22, s36
	s_sub_u32 s0, s2, s0
	s_subb_u32 s1, 0, s1
	s_mul_i32 s1, s1, 12
	s_mul_hi_u32 s20, s0, 12
	s_add_i32 s27, s20, s1
	s_mul_i32 s26, s0, 12
	s_waitcnt lgkmcnt(0)
	s_mul_i32 s0, s14, s27
	s_mul_hi_u32 s1, s14, s26
	s_add_i32 s0, s1, s0
	s_mul_i32 s1, s15, s26
	s_add_i32 s35, s0, s1
	s_mul_i32 s0, s6, s27
	s_mul_hi_u32 s1, s6, s26
	s_add_i32 s0, s1, s0
	s_mul_i32 s1, s7, s26
	s_add_i32 s21, s0, s1
	v_cmp_lt_u64_e64 s[0:1], s[38:39], 3
	s_mul_i32 s34, s14, s26
	s_mul_i32 s20, s6, s26
	s_and_b64 vcc, exec, s[0:1]
	s_cbranch_vccnz .LBB0_12
; %bb.3:
	s_add_u32 s40, s30, 16
	s_addc_u32 s41, s31, 0
	s_add_u32 s42, s18, 16
	s_addc_u32 s43, s19, 0
	;; [unrolled: 2-line block ×3, first 2 shown]
	s_mov_b64 s[44:45], 2
	s_mov_b32 s46, 0
	v_mov_b64_e32 v[2:3], s[38:39]
.LBB0_4:                                ; =>This Inner Loop Header: Depth=1
	s_load_dwordx2 s[48:49], s[16:17], 0x0
	s_waitcnt lgkmcnt(0)
	s_or_b64 s[0:1], s[22:23], s[48:49]
	s_mov_b32 s47, s1
	s_cmp_lg_u64 s[46:47], 0
	s_cbranch_scc0 .LBB0_9
; %bb.5:                                ;   in Loop: Header=BB0_4 Depth=1
	v_cvt_f32_u32_e32 v1, s48
	v_cvt_f32_u32_e32 v4, s49
	s_sub_u32 s0, 0, s48
	s_subb_u32 s1, 0, s49
	v_fmac_f32_e32 v1, 0x4f800000, v4
	v_rcp_f32_e32 v1, v1
	s_nop 0
	v_mul_f32_e32 v1, 0x5f7ffffc, v1
	v_mul_f32_e32 v4, 0x2f800000, v1
	v_trunc_f32_e32 v4, v4
	v_fmac_f32_e32 v1, 0xcf800000, v4
	v_cvt_u32_f32_e32 v4, v4
	v_cvt_u32_f32_e32 v1, v1
	v_readfirstlane_b32 s33, v4
	v_readfirstlane_b32 s47, v1
	s_mul_i32 s50, s0, s33
	s_mul_hi_u32 s52, s0, s47
	s_mul_i32 s51, s1, s47
	s_add_i32 s50, s52, s50
	s_mul_i32 s53, s0, s47
	s_add_i32 s50, s50, s51
	s_mul_hi_u32 s51, s47, s50
	s_mul_i32 s52, s47, s50
	s_mul_hi_u32 s47, s47, s53
	s_add_u32 s47, s47, s52
	s_addc_u32 s51, 0, s51
	s_mul_hi_u32 s54, s33, s53
	s_mul_i32 s53, s33, s53
	s_add_u32 s47, s47, s53
	s_mul_hi_u32 s52, s33, s50
	s_addc_u32 s47, s51, s54
	s_addc_u32 s51, s52, 0
	s_mul_i32 s50, s33, s50
	s_add_u32 s47, s47, s50
	s_addc_u32 s50, 0, s51
	v_add_co_u32_e32 v1, vcc, s47, v1
	s_cmp_lg_u64 vcc, 0
	s_addc_u32 s33, s33, s50
	v_readfirstlane_b32 s50, v1
	s_mul_i32 s47, s0, s33
	s_mul_hi_u32 s51, s0, s50
	s_add_i32 s47, s51, s47
	s_mul_i32 s1, s1, s50
	s_add_i32 s47, s47, s1
	s_mul_i32 s0, s0, s50
	s_mul_hi_u32 s51, s33, s0
	s_mul_i32 s52, s33, s0
	s_mul_i32 s54, s50, s47
	s_mul_hi_u32 s0, s50, s0
	s_mul_hi_u32 s53, s50, s47
	s_add_u32 s0, s0, s54
	s_addc_u32 s50, 0, s53
	s_add_u32 s0, s0, s52
	s_mul_hi_u32 s1, s33, s47
	s_addc_u32 s0, s50, s51
	s_addc_u32 s1, s1, 0
	s_mul_i32 s47, s33, s47
	s_add_u32 s0, s0, s47
	s_addc_u32 s1, 0, s1
	v_add_co_u32_e32 v1, vcc, s0, v1
	s_cmp_lg_u64 vcc, 0
	s_addc_u32 s0, s33, s1
	v_readfirstlane_b32 s47, v1
	s_mul_i32 s33, s22, s0
	s_mul_hi_u32 s50, s22, s47
	s_mul_hi_u32 s1, s22, s0
	s_add_u32 s33, s50, s33
	s_addc_u32 s1, 0, s1
	s_mul_hi_u32 s51, s23, s47
	s_mul_i32 s47, s23, s47
	s_add_u32 s33, s33, s47
	s_mul_hi_u32 s50, s23, s0
	s_addc_u32 s1, s1, s51
	s_addc_u32 s33, s50, 0
	s_mul_i32 s0, s23, s0
	s_add_u32 s47, s1, s0
	s_addc_u32 s33, 0, s33
	s_mul_i32 s0, s48, s33
	s_mul_hi_u32 s1, s48, s47
	s_add_i32 s0, s1, s0
	s_mul_i32 s1, s49, s47
	s_add_i32 s50, s0, s1
	s_mul_i32 s1, s48, s47
	v_mov_b32_e32 v1, s1
	s_sub_i32 s0, s23, s50
	v_sub_co_u32_e32 v1, vcc, s22, v1
	s_cmp_lg_u64 vcc, 0
	s_subb_u32 s51, s0, s49
	v_subrev_co_u32_e64 v4, s[0:1], s48, v1
	s_cmp_lg_u64 s[0:1], 0
	s_subb_u32 s0, s51, 0
	s_cmp_ge_u32 s0, s49
	v_readfirstlane_b32 s51, v4
	s_cselect_b32 s1, -1, 0
	s_cmp_ge_u32 s51, s48
	s_cselect_b32 s51, -1, 0
	s_cmp_eq_u32 s0, s49
	s_cselect_b32 s0, s51, s1
	s_add_u32 s1, s47, 1
	s_addc_u32 s51, s33, 0
	s_add_u32 s52, s47, 2
	s_addc_u32 s53, s33, 0
	s_cmp_lg_u32 s0, 0
	s_cselect_b32 s0, s52, s1
	s_cselect_b32 s1, s53, s51
	s_cmp_lg_u64 vcc, 0
	s_subb_u32 s50, s23, s50
	s_cmp_ge_u32 s50, s49
	v_readfirstlane_b32 s52, v1
	s_cselect_b32 s51, -1, 0
	s_cmp_ge_u32 s52, s48
	s_cselect_b32 s52, -1, 0
	s_cmp_eq_u32 s50, s49
	s_cselect_b32 s50, s52, s51
	s_cmp_lg_u32 s50, 0
	s_cselect_b32 s1, s1, s33
	s_cselect_b32 s0, s0, s47
	s_cbranch_execnz .LBB0_7
.LBB0_6:                                ;   in Loop: Header=BB0_4 Depth=1
	v_cvt_f32_u32_e32 v1, s48
	s_sub_i32 s0, 0, s48
	v_rcp_iflag_f32_e32 v1, v1
	s_nop 0
	v_mul_f32_e32 v1, 0x4f7ffffe, v1
	v_cvt_u32_f32_e32 v1, v1
	s_nop 0
	v_readfirstlane_b32 s1, v1
	s_mul_i32 s0, s0, s1
	s_mul_hi_u32 s0, s1, s0
	s_add_i32 s1, s1, s0
	s_mul_hi_u32 s0, s22, s1
	s_mul_i32 s33, s0, s48
	s_sub_i32 s33, s22, s33
	s_add_i32 s1, s0, 1
	s_sub_i32 s47, s33, s48
	s_cmp_ge_u32 s33, s48
	s_cselect_b32 s0, s1, s0
	s_cselect_b32 s33, s47, s33
	s_add_i32 s1, s0, 1
	s_cmp_ge_u32 s33, s48
	s_cselect_b32 s0, s1, s0
	s_mov_b32 s1, s46
.LBB0_7:                                ;   in Loop: Header=BB0_4 Depth=1
	s_mul_i32 s33, s48, s37
	s_mul_hi_u32 s37, s48, s36
	s_add_i32 s33, s37, s33
	s_mul_i32 s37, s49, s36
	s_add_i32 s37, s33, s37
	s_mul_i32 s33, s0, s49
	s_mul_hi_u32 s47, s0, s48
	s_load_dwordx2 s[50:51], s[42:43], 0x0
	s_add_i32 s33, s47, s33
	s_mul_i32 s47, s1, s48
	s_add_i32 s33, s33, s47
	s_mul_i32 s47, s0, s48
	s_sub_u32 s47, s22, s47
	s_subb_u32 s33, s23, s33
	s_waitcnt lgkmcnt(0)
	s_mul_i32 s22, s50, s33
	s_mul_hi_u32 s23, s50, s47
	s_mul_i32 s36, s48, s36
	s_add_i32 s48, s23, s22
	s_load_dwordx2 s[22:23], s[40:41], 0x0
	s_mul_i32 s49, s51, s47
	s_add_i32 s48, s48, s49
	s_mul_i32 s49, s50, s47
	s_add_u32 s34, s49, s34
	s_addc_u32 s35, s48, s35
	s_waitcnt lgkmcnt(0)
	s_mul_i32 s33, s22, s33
	s_mul_hi_u32 s48, s22, s47
	s_add_i32 s33, s48, s33
	s_mul_i32 s23, s23, s47
	s_add_i32 s33, s33, s23
	s_mul_i32 s22, s22, s47
	s_add_u32 s20, s22, s20
	s_addc_u32 s21, s33, s21
	s_add_u32 s44, s44, 1
	s_addc_u32 s45, s45, 0
	;; [unrolled: 2-line block ×4, first 2 shown]
	s_add_u32 s16, s16, 8
	v_cmp_ge_u64_e32 vcc, s[44:45], v[2:3]
	s_addc_u32 s17, s17, 0
	s_cbranch_vccnz .LBB0_10
; %bb.8:                                ;   in Loop: Header=BB0_4 Depth=1
	s_mov_b64 s[22:23], s[0:1]
	s_branch .LBB0_4
.LBB0_9:                                ;   in Loop: Header=BB0_4 Depth=1
                                        ; implicit-def: $sgpr0_sgpr1
	s_branch .LBB0_6
.LBB0_10:
	v_mov_b64_e32 v[2:3], s[36:37]
	v_cmp_lt_u64_e32 vcc, s[2:3], v[2:3]
	s_mov_b64 s[22:23], 0
	s_cbranch_vccnz .LBB0_12
; %bb.11:
	v_cvt_f32_u32_e32 v1, s36
	s_sub_i32 s0, 0, s36
	v_rcp_iflag_f32_e32 v1, v1
	s_nop 0
	v_mul_f32_e32 v1, 0x4f7ffffe, v1
	v_cvt_u32_f32_e32 v1, v1
	s_nop 0
	v_readfirstlane_b32 s1, v1
	s_mul_i32 s0, s0, s1
	s_mul_hi_u32 s0, s1, s0
	s_add_i32 s1, s1, s0
	s_mul_hi_u32 s0, s2, s1
	s_mul_i32 s3, s0, s36
	s_sub_i32 s2, s2, s3
	s_add_i32 s1, s0, 1
	s_sub_i32 s3, s2, s36
	s_cmp_ge_u32 s2, s36
	s_cselect_b32 s0, s1, s0
	s_cselect_b32 s2, s3, s2
	s_add_i32 s1, s0, 1
	s_cmp_ge_u32 s2, s36
	s_cselect_b32 s22, s1, s0
.LBB0_12:
	s_lshl_b64 s[36:37], s[38:39], 3
	s_add_u32 s2, s30, s36
	s_addc_u32 s3, s31, s37
	s_add_u32 s0, s26, 12
	v_mul_u32_u24_e32 v1, 0x1556, v0
	s_addc_u32 s1, s27, 0
	v_mov_b64_e32 v[2:3], s[28:29]
	v_lshrrev_b32_e32 v54, 16, v1
	v_cmp_le_u64_e32 vcc, s[0:1], v[2:3]
	v_mul_lo_u16_e32 v1, 12, v54
	s_mov_b32 s0, 0
	v_sub_u16_e32 v2, v0, v1
	v_mov_b32_e32 v3, s0
	v_lshl_add_u64 v[4:5], s[26:27], 0, v[2:3]
	v_cmp_gt_u64_e64 s[0:1], s[28:29], v[4:5]
	s_or_b64 s[0:1], vcc, s[0:1]
	v_lshlrev_b32_e32 v58, 3, v54
	v_add_u32_e32 v57, 13, v54
	v_add_u32_e32 v56, 26, v54
	;; [unrolled: 1-line block ×4, first 2 shown]
	s_and_saveexec_b64 s[16:17], s[0:1]
	s_cbranch_execz .LBB0_14
; %bb.13:
	s_add_u32 s18, s18, s36
	s_addc_u32 s19, s19, s37
	s_load_dwordx2 s[18:19], s[18:19], 0x0
	v_mad_u64_u32 v[4:5], s[28:29], s14, v2, 0
	v_mov_b32_e32 v6, v5
	v_add_u32_e32 v1, 0x41, v54
	s_waitcnt lgkmcnt(0)
	s_mul_i32 s14, s19, s22
	s_mul_hi_u32 s19, s18, s22
	s_add_i32 s19, s19, s14
	v_mad_u64_u32 v[6:7], s[14:15], s15, v2, v[6:7]
	v_mov_b32_e32 v5, v6
	v_mad_u64_u32 v[6:7], s[14:15], s12, v54, 0
	v_mov_b32_e32 v8, v7
	s_mul_i32 s18, s18, s22
	v_mad_u64_u32 v[8:9], s[14:15], s13, v54, v[8:9]
	s_lshl_b64 s[14:15], s[18:19], 3
	s_add_u32 s14, s8, s14
	s_addc_u32 s15, s9, s15
	s_lshl_b64 s[8:9], s[34:35], 3
	s_add_u32 s8, s14, s8
	s_addc_u32 s9, s15, s9
	v_mov_b32_e32 v7, v8
	v_lshl_add_u64 v[4:5], v[4:5], 3, s[8:9]
	v_mad_u64_u32 v[8:9], s[8:9], s12, v57, 0
	v_mov_b32_e32 v10, v9
	v_mad_u64_u32 v[10:11], s[8:9], s13, v57, v[10:11]
	v_mov_b32_e32 v9, v10
	;; [unrolled: 2-line block ×5, first 2 shown]
	v_mad_u64_u32 v[14:15], s[8:9], s13, v55, v[14:15]
	v_lshl_add_u64 v[6:7], v[6:7], 3, v[4:5]
	v_mov_b32_e32 v13, v14
	v_lshl_add_u64 v[8:9], v[8:9], 3, v[4:5]
	v_lshl_add_u64 v[10:11], v[10:11], 3, v[4:5]
	;; [unrolled: 1-line block ×3, first 2 shown]
	global_load_dwordx2 v[14:15], v[6:7], off
	global_load_dwordx2 v[16:17], v[8:9], off
	;; [unrolled: 1-line block ×4, first 2 shown]
	v_mad_u64_u32 v[6:7], s[8:9], s12, v3, 0
	v_mov_b32_e32 v8, v7
	v_mad_u64_u32 v[8:9], s[8:9], s13, v3, v[8:9]
	v_mov_b32_e32 v7, v8
	;; [unrolled: 2-line block ×3, first 2 shown]
	v_mad_u64_u32 v[10:11], s[8:9], s13, v1, v[10:11]
	v_add_u32_e32 v1, 0x4e, v54
	v_mov_b32_e32 v9, v10
	v_mad_u64_u32 v[10:11], s[8:9], s12, v1, 0
	v_mov_b32_e32 v12, v11
	v_mad_u64_u32 v[12:13], s[8:9], s13, v1, v[12:13]
	v_add_u32_e32 v1, 0x5b, v54
	v_mov_b32_e32 v11, v12
	v_mad_u64_u32 v[12:13], s[8:9], s12, v1, 0
	v_mov_b32_e32 v22, v13
	v_mad_u64_u32 v[22:23], s[8:9], s13, v1, v[22:23]
	v_lshl_add_u64 v[6:7], v[6:7], 3, v[4:5]
	v_mov_b32_e32 v13, v22
	v_add_u32_e32 v1, 0x68, v54
	v_lshl_add_u64 v[8:9], v[8:9], 3, v[4:5]
	v_lshl_add_u64 v[10:11], v[10:11], 3, v[4:5]
	;; [unrolled: 1-line block ×3, first 2 shown]
	global_load_dwordx2 v[22:23], v[6:7], off
	global_load_dwordx2 v[24:25], v[8:9], off
	;; [unrolled: 1-line block ×4, first 2 shown]
	v_mad_u64_u32 v[6:7], s[8:9], s12, v1, 0
	v_mov_b32_e32 v8, v7
	v_mad_u64_u32 v[8:9], s[8:9], s13, v1, v[8:9]
	v_add_u32_e32 v1, 0x75, v54
	v_mov_b32_e32 v7, v8
	v_mad_u64_u32 v[8:9], s[8:9], s12, v1, 0
	v_mov_b32_e32 v10, v9
	v_mad_u64_u32 v[10:11], s[8:9], s13, v1, v[10:11]
	v_add_u32_e32 v1, 0x82, v54
	v_mov_b32_e32 v9, v10
	;; [unrolled: 5-line block ×3, first 2 shown]
	v_mad_u64_u32 v[12:13], s[8:9], s12, v1, 0
	v_mov_b32_e32 v30, v13
	v_mad_u64_u32 v[30:31], s[8:9], s13, v1, v[30:31]
	v_lshl_add_u64 v[6:7], v[6:7], 3, v[4:5]
	v_mov_b32_e32 v13, v30
	v_lshl_add_u64 v[8:9], v[8:9], 3, v[4:5]
	v_lshl_add_u64 v[10:11], v[10:11], 3, v[4:5]
	;; [unrolled: 1-line block ×3, first 2 shown]
	global_load_dwordx2 v[30:31], v[6:7], off
	global_load_dwordx2 v[32:33], v[8:9], off
	;; [unrolled: 1-line block ×4, first 2 shown]
	v_add_u32_e32 v1, 0x9c, v54
	v_mad_u64_u32 v[6:7], s[8:9], s12, v1, 0
	v_mov_b32_e32 v8, v7
	v_mad_u64_u32 v[8:9], s[8:9], s13, v1, v[8:9]
	v_mov_b32_e32 v7, v8
	v_lshl_add_u64 v[4:5], v[6:7], 3, v[4:5]
	global_load_dwordx2 v[4:5], v[4:5], off
	v_mul_u32_u24_e32 v1, 0x548, v2
	v_add3_u32 v1, 0, v1, v58
	s_waitcnt vmcnt(11)
	ds_write2_b64 v1, v[14:15], v[16:17] offset1:13
	s_waitcnt vmcnt(9)
	ds_write2_b64 v1, v[18:19], v[20:21] offset0:26 offset1:39
	s_waitcnt vmcnt(7)
	ds_write2_b64 v1, v[22:23], v[24:25] offset0:52 offset1:65
	;; [unrolled: 2-line block ×5, first 2 shown]
	s_waitcnt vmcnt(0)
	ds_write_b64 v1, v[4:5] offset:1248
.LBB0_14:
	s_or_b64 exec, exec, s[16:17]
	s_movk_i32 s8, 0x13b2
	v_mul_u32_u24_sdwa v1, v0, s8 dst_sel:DWORD dst_unused:UNUSED_PAD src0_sel:WORD_0 src1_sel:DWORD
	s_add_u32 s8, 0, 0x55540000
	s_addc_u32 s9, 0, 0x55
	s_add_i32 s9, s9, 0x15555500
	s_mul_hi_u32 s15, s8, -12
	s_sub_i32 s15, s15, s8
	s_mul_i32 s16, s9, -12
	s_mul_i32 s12, s8, -12
	s_add_i32 s15, s15, s16
	s_mul_hi_u32 s13, s9, s12
	s_mul_i32 s14, s9, s12
	s_mul_i32 s17, s8, s15
	s_mul_hi_u32 s12, s8, s12
	s_mul_hi_u32 s16, s8, s15
	s_add_u32 s12, s12, s17
	s_addc_u32 s16, 0, s16
	s_add_u32 s12, s12, s14
	s_mul_hi_u32 s17, s9, s15
	s_addc_u32 s12, s16, s13
	s_addc_u32 s13, s17, 0
	s_mul_i32 s14, s9, s15
	s_add_u32 s12, s12, s14
	v_lshrrev_b32_e32 v4, 16, v1
	v_mov_b32_e32 v1, s12
	s_addc_u32 s13, 0, s13
	v_add_co_u32_e32 v1, vcc, s8, v1
	v_mov_b32_e32 v5, 0
	s_cmp_lg_u64 vcc, 0
	v_lshl_add_u64 v[6:7], s[26:27], 0, v[4:5]
	s_addc_u32 s12, s9, s13
	v_mad_u64_u32 v[8:9], s[8:9], v6, s12, 0
	v_mul_hi_u32 v10, v6, v1
	v_mov_b32_e32 v11, v5
	v_lshl_add_u64 v[8:9], v[10:11], 0, v[8:9]
	v_mad_u64_u32 v[12:13], s[8:9], v7, v1, 0
	v_add_co_u32_e32 v1, vcc, v8, v12
	v_mad_u64_u32 v[10:11], s[8:9], v7, s12, 0
	s_nop 0
	v_addc_co_u32_e32 v8, vcc, v9, v13, vcc
	v_mov_b32_e32 v9, v5
	s_nop 0
	v_addc_co_u32_e32 v11, vcc, 0, v11, vcc
	v_lshl_add_u64 v[8:9], v[8:9], 0, v[10:11]
	v_mad_u64_u32 v[10:11], s[8:9], v8, 12, 0
	v_mov_b32_e32 v8, v11
	v_mad_u64_u32 v[8:9], s[8:9], v9, 12, v[8:9]
	v_sub_co_u32_e32 v1, vcc, v6, v10
	v_mul_lo_u16_e32 v4, 13, v4
	s_nop 0
	v_subb_co_u32_e32 v5, vcc, v7, v8, vcc
	v_subrev_co_u32_e32 v6, vcc, 12, v1
	v_sub_u16_e32 v160, v0, v4
	s_nop 0
	v_subbrev_co_u32_e32 v7, vcc, 0, v5, vcc
	v_cmp_lt_u32_e32 vcc, 11, v6
	s_load_dwordx2 s[2:3], s[2:3], 0x0
	s_waitcnt lgkmcnt(0)
	v_cndmask_b32_e64 v8, 0, -1, vcc
	v_cmp_eq_u32_e32 vcc, 0, v7
	s_barrier
	s_nop 0
	v_cndmask_b32_e32 v7, -1, v8, vcc
	v_add_u32_e32 v8, -12, v6
	v_cmp_ne_u32_e32 vcc, 0, v7
	s_mov_b32 s48, 0xbeedf032
	s_movk_i32 s8, 0x60
	v_cndmask_b32_e32 v6, v6, v8, vcc
	v_cmp_lt_u32_e32 vcc, 11, v1
	s_mov_b32 s14, 0x3f62ad3f
	s_mov_b32 s30, 0xbf52af12
	v_cndmask_b32_e64 v7, 0, -1, vcc
	v_cmp_eq_u32_e32 vcc, 0, v5
	s_mov_b32 s40, 0xbf7e222b
	s_mov_b32 s12, 0x3df6dbef
	v_cndmask_b32_e32 v5, -1, v7, vcc
	v_cmp_ne_u32_e32 vcc, 0, v5
	s_mov_b32 s18, 0xbf6f5d39
	s_mov_b32 s16, 0xbeb58ec6
	v_cndmask_b32_e32 v1, v1, v6, vcc
	v_mul_u32_u24_e32 v1, 0xa9, v1
	v_lshlrev_b32_e32 v0, 3, v1
	v_lshlrev_b32_e32 v1, 3, v160
	v_add3_u32 v59, 0, v1, v0
	v_add3_u32 v161, 0, v0, v1
	ds_read2_b64 v[14:17], v59 offset0:39 offset1:52
	ds_read_b64 v[0:1], v161
	ds_read2_b64 v[6:9], v59 offset0:13 offset1:26
	ds_read2_b64 v[22:25], v59 offset0:65 offset1:78
	;; [unrolled: 1-line block ×5, first 2 shown]
	s_waitcnt lgkmcnt(4)
	v_pk_add_f32 v[4:5], v[0:1], v[6:7]
	v_mad_u32_u24 v162, v160, s8, v59
	v_pk_add_f32 v[4:5], v[4:5], v[8:9]
	s_mov_b32 s8, 0x3f116cb1
	v_pk_add_f32 v[4:5], v[4:5], v[14:15]
	s_waitcnt lgkmcnt(0)
	v_pk_add_f32 v[60:61], v[6:7], v[12:13] neg_lo:[0,1] neg_hi:[0,1]
	v_pk_add_f32 v[4:5], v[4:5], v[16:17]
	v_pk_add_f32 v[52:53], v[12:13], v[6:7]
	;; [unrolled: 1-line block ×3, first 2 shown]
	v_pk_mul_f32 v[6:7], v[60:61], s[48:49] op_sel_hi:[1,0]
	v_pk_add_f32 v[4:5], v[4:5], v[24:25]
	v_pk_add_f32 v[64:65], v[8:9], v[10:11] neg_lo:[0,1] neg_hi:[0,1]
	v_pk_add_f32 v[4:5], v[4:5], v[26:27]
	v_pk_add_f32 v[62:63], v[10:11], v[8:9]
	;; [unrolled: 1-line block ×3, first 2 shown]
	v_pk_add_f32 v[68:69], v[14:15], v[20:21] neg_lo:[0,1] neg_hi:[0,1]
	v_pk_add_f32 v[4:5], v[4:5], v[18:19]
	v_pk_add_f32 v[66:67], v[20:21], v[14:15]
	;; [unrolled: 1-line block ×3, first 2 shown]
	v_pk_mul_f32 v[14:15], v[68:69], s[40:41] op_sel_hi:[1,0]
	v_pk_add_f32 v[4:5], v[4:5], v[10:11]
	v_pk_mul_f32 v[10:11], v[64:65], s[30:31] op_sel_hi:[1,0]
	v_pk_add_f32 v[30:31], v[4:5], v[12:13]
	v_pk_fma_f32 v[4:5], v[52:53], s[14:15], v[6:7] op_sel:[0,0,1] op_sel_hi:[1,0,0]
	v_pk_fma_f32 v[6:7], v[52:53], s[14:15], v[6:7] op_sel:[0,0,1] op_sel_hi:[1,0,0] neg_lo:[0,0,1] neg_hi:[0,0,1]
	v_mov_b32_e32 v12, v4
	v_mov_b32_e32 v13, v7
	v_pk_fma_f32 v[8:9], v[62:63], s[8:9], v[10:11] op_sel:[0,0,1] op_sel_hi:[1,0,0]
	v_pk_fma_f32 v[10:11], v[62:63], s[8:9], v[10:11] op_sel:[0,0,1] op_sel_hi:[1,0,0] neg_lo:[0,0,1] neg_hi:[0,0,1]
	v_pk_add_f32 v[12:13], v[0:1], v[12:13]
	v_mov_b32_e32 v32, v8
	v_mov_b32_e32 v33, v11
	v_pk_add_f32 v[72:73], v[16:17], v[18:19] neg_lo:[0,1] neg_hi:[0,1]
	v_pk_add_f32 v[32:33], v[32:33], v[12:13]
	v_pk_fma_f32 v[12:13], v[66:67], s[12:13], v[14:15] op_sel:[0,0,1] op_sel_hi:[1,0,0]
	v_pk_fma_f32 v[14:15], v[66:67], s[12:13], v[14:15] op_sel:[0,0,1] op_sel_hi:[1,0,0] neg_lo:[0,0,1] neg_hi:[0,0,1]
	v_pk_add_f32 v[70:71], v[18:19], v[16:17]
	v_pk_mul_f32 v[18:19], v[72:73], s[18:19] op_sel_hi:[1,0]
	v_mov_b32_e32 v20, v12
	v_mov_b32_e32 v21, v15
	v_pk_fma_f32 v[16:17], v[70:71], s[16:17], v[18:19] op_sel:[0,0,1] op_sel_hi:[1,0,0]
	v_pk_fma_f32 v[18:19], v[70:71], s[16:17], v[18:19] op_sel:[0,0,1] op_sel_hi:[1,0,0] neg_lo:[0,0,1] neg_hi:[0,0,1]
	v_pk_add_f32 v[76:77], v[22:23], v[28:29] neg_lo:[0,1] neg_hi:[0,1]
	s_mov_b32 s28, 0xbf29c268
	v_pk_add_f32 v[20:21], v[20:21], v[32:33]
	v_mov_b32_e32 v32, v16
	v_mov_b32_e32 v33, v19
	v_pk_add_f32 v[74:75], v[28:29], v[22:23]
	s_mov_b32 s26, 0xbf3f9e67
	v_pk_mul_f32 v[22:23], v[76:77], s[28:29] op_sel_hi:[1,0]
	v_pk_add_f32 v[80:81], v[24:25], v[26:27] neg_lo:[0,1] neg_hi:[0,1]
	s_mov_b32 s36, 0xbe750f2a
	v_pk_add_f32 v[32:33], v[32:33], v[20:21]
	v_pk_fma_f32 v[20:21], v[74:75], s[26:27], v[22:23] op_sel:[0,0,1] op_sel_hi:[1,0,0]
	v_pk_fma_f32 v[22:23], v[74:75], s[26:27], v[22:23] op_sel:[0,0,1] op_sel_hi:[1,0,0] neg_lo:[0,0,1] neg_hi:[0,0,1]
	v_pk_add_f32 v[78:79], v[26:27], v[24:25]
	s_mov_b32 s34, 0xbf788fa5
	v_pk_mul_f32 v[26:27], v[80:81], s[36:37] op_sel_hi:[1,0]
	v_mov_b32_e32 v28, v20
	v_mov_b32_e32 v29, v23
	v_pk_fma_f32 v[24:25], v[78:79], s[34:35], v[26:27] op_sel:[0,0,1] op_sel_hi:[1,0,0]
	v_pk_fma_f32 v[26:27], v[78:79], s[34:35], v[26:27] op_sel:[0,0,1] op_sel_hi:[1,0,0] neg_lo:[0,0,1] neg_hi:[0,0,1]
	v_pk_add_f32 v[28:29], v[28:29], v[32:33]
	v_mov_b32_e32 v32, v24
	v_mov_b32_e32 v33, v27
	v_pk_add_f32 v[28:29], v[32:33], v[28:29]
	s_barrier
	ds_write2_b64 v162, v[30:31], v[28:29] offset1:1
	v_pk_mul_f32 v[30:31], v[60:61], s[30:31] op_sel_hi:[1,0]
	v_pk_mul_f32 v[34:35], v[64:65], s[18:19] op_sel_hi:[1,0]
	v_pk_fma_f32 v[28:29], v[52:53], s[8:9], v[30:31] op_sel:[0,0,1] op_sel_hi:[1,0,0]
	v_pk_fma_f32 v[30:31], v[52:53], s[8:9], v[30:31] op_sel:[0,0,1] op_sel_hi:[1,0,0] neg_lo:[0,0,1] neg_hi:[0,0,1]
	v_mov_b32_e32 v32, v28
	v_mov_b32_e32 v33, v31
	v_pk_add_f32 v[36:37], v[0:1], v[32:33]
	v_pk_fma_f32 v[32:33], v[62:63], s[16:17], v[34:35] op_sel:[0,0,1] op_sel_hi:[1,0,0]
	v_pk_fma_f32 v[34:35], v[62:63], s[16:17], v[34:35] op_sel:[0,0,1] op_sel_hi:[1,0,0] neg_lo:[0,0,1] neg_hi:[0,0,1]
	v_mov_b32_e32 v38, v32
	v_mov_b32_e32 v39, v35
	v_pk_add_f32 v[40:41], v[38:39], v[36:37]
	v_pk_mul_f32 v[38:39], v[68:69], s[36:37] op_sel_hi:[1,0]
	s_mov_b32 s44, 0x3f29c268
	v_pk_fma_f32 v[36:37], v[66:67], s[34:35], v[38:39] op_sel:[0,0,1] op_sel_hi:[1,0,0]
	v_pk_fma_f32 v[38:39], v[66:67], s[34:35], v[38:39] op_sel:[0,0,1] op_sel_hi:[1,0,0] neg_lo:[0,0,1] neg_hi:[0,0,1]
	v_mov_b32_e32 v42, v36
	v_mov_b32_e32 v43, v39
	v_pk_add_f32 v[44:45], v[42:43], v[40:41]
	v_pk_mul_f32 v[42:43], v[72:73], s[44:45] op_sel_hi:[1,0]
	s_mov_b32 s38, 0x3f7e222b
	;; [unrolled: 7-line block ×3, first 2 shown]
	v_pk_fma_f32 v[44:45], v[74:75], s[12:13], v[46:47] op_sel:[0,0,1] op_sel_hi:[1,0,0]
	v_pk_fma_f32 v[46:47], v[74:75], s[12:13], v[46:47] op_sel:[0,0,1] op_sel_hi:[1,0,0] neg_lo:[0,0,1] neg_hi:[0,0,1]
	v_mov_b32_e32 v50, v44
	v_mov_b32_e32 v51, v47
	v_pk_add_f32 v[82:83], v[50:51], v[48:49]
	v_pk_mul_f32 v[50:51], v[80:81], s[42:43] op_sel_hi:[1,0]
	v_pk_mul_f32 v[90:91], v[64:65], s[36:37] op_sel_hi:[1,0]
	v_pk_fma_f32 v[48:49], v[78:79], s[14:15], v[50:51] op_sel:[0,0,1] op_sel_hi:[1,0,0]
	v_pk_fma_f32 v[50:51], v[78:79], s[14:15], v[50:51] op_sel:[0,0,1] op_sel_hi:[1,0,0] neg_lo:[0,0,1] neg_hi:[0,0,1]
	v_mov_b32_e32 v84, v48
	v_mov_b32_e32 v85, v51
	v_pk_add_f32 v[82:83], v[84:85], v[82:83]
	v_pk_mul_f32 v[84:85], v[60:61], s[40:41] op_sel_hi:[1,0]
	v_pk_fma_f32 v[92:93], v[62:63], s[34:35], v[90:91] op_sel:[0,0,1] op_sel_hi:[1,0,0]
	v_pk_fma_f32 v[86:87], v[52:53], s[12:13], v[84:85] op_sel:[0,0,1] op_sel_hi:[1,0,0]
	v_pk_fma_f32 v[84:85], v[52:53], s[12:13], v[84:85] op_sel:[0,0,1] op_sel_hi:[1,0,0] neg_lo:[0,0,1] neg_hi:[0,0,1]
	v_mov_b32_e32 v88, v86
	v_mov_b32_e32 v89, v85
	v_pk_fma_f32 v[90:91], v[62:63], s[34:35], v[90:91] op_sel:[0,0,1] op_sel_hi:[1,0,0] neg_lo:[0,0,1] neg_hi:[0,0,1]
	v_pk_add_f32 v[88:89], v[0:1], v[88:89]
	v_mov_b32_e32 v94, v92
	v_mov_b32_e32 v95, v91
	s_mov_b32 s52, 0x3f6f5d39
	v_pk_add_f32 v[88:89], v[94:95], v[88:89]
	v_pk_mul_f32 v[94:95], v[68:69], s[52:53] op_sel_hi:[1,0]
	v_pk_mul_f32 v[112:113], v[64:65], s[44:45] op_sel_hi:[1,0]
	v_pk_fma_f32 v[96:97], v[66:67], s[16:17], v[94:95] op_sel:[0,0,1] op_sel_hi:[1,0,0]
	v_pk_fma_f32 v[94:95], v[66:67], s[16:17], v[94:95] op_sel:[0,0,1] op_sel_hi:[1,0,0] neg_lo:[0,0,1] neg_hi:[0,0,1]
	v_mov_b32_e32 v98, v96
	v_mov_b32_e32 v99, v95
	v_pk_add_f32 v[88:89], v[98:99], v[88:89]
	v_pk_mul_f32 v[98:99], v[72:73], s[42:43] op_sel_hi:[1,0]
	v_pk_fma_f32 v[114:115], v[62:63], s[26:27], v[112:113] op_sel:[0,0,1] op_sel_hi:[1,0,0]
	v_pk_fma_f32 v[100:101], v[70:71], s[14:15], v[98:99] op_sel:[0,0,1] op_sel_hi:[1,0,0]
	v_pk_fma_f32 v[98:99], v[70:71], s[14:15], v[98:99] op_sel:[0,0,1] op_sel_hi:[1,0,0] neg_lo:[0,0,1] neg_hi:[0,0,1]
	v_mov_b32_e32 v102, v100
	v_mov_b32_e32 v103, v99
	v_pk_add_f32 v[88:89], v[102:103], v[88:89]
	v_pk_mul_f32 v[102:103], v[76:77], s[30:31] op_sel_hi:[1,0]
	v_pk_fma_f32 v[112:113], v[62:63], s[26:27], v[112:113] op_sel:[0,0,1] op_sel_hi:[1,0,0] neg_lo:[0,0,1] neg_hi:[0,0,1]
	v_pk_fma_f32 v[104:105], v[74:75], s[8:9], v[102:103] op_sel:[0,0,1] op_sel_hi:[1,0,0]
	v_pk_fma_f32 v[102:103], v[74:75], s[8:9], v[102:103] op_sel:[0,0,1] op_sel_hi:[1,0,0] neg_lo:[0,0,1] neg_hi:[0,0,1]
	v_mov_b32_e32 v106, v104
	v_mov_b32_e32 v107, v103
	v_pk_add_f32 v[88:89], v[106:107], v[88:89]
	v_pk_mul_f32 v[106:107], v[80:81], s[28:29] op_sel_hi:[1,0]
	v_mov_b32_e32 v116, v114
	v_pk_fma_f32 v[108:109], v[78:79], s[26:27], v[106:107] op_sel:[0,0,1] op_sel_hi:[1,0,0]
	v_pk_fma_f32 v[106:107], v[78:79], s[26:27], v[106:107] op_sel:[0,0,1] op_sel_hi:[1,0,0] neg_lo:[0,0,1] neg_hi:[0,0,1]
	v_mov_b32_e32 v110, v108
	v_mov_b32_e32 v111, v107
	v_pk_add_f32 v[88:89], v[110:111], v[88:89]
	ds_write2_b64 v162, v[82:83], v[88:89] offset0:2 offset1:3
	v_pk_mul_f32 v[82:83], v[60:61], s[18:19] op_sel_hi:[1,0]
	v_mov_b32_e32 v117, v113
	v_pk_fma_f32 v[88:89], v[52:53], s[16:17], v[82:83] op_sel:[0,0,1] op_sel_hi:[1,0,0]
	v_pk_fma_f32 v[82:83], v[52:53], s[16:17], v[82:83] op_sel:[0,0,1] op_sel_hi:[1,0,0] neg_lo:[0,0,1] neg_hi:[0,0,1]
	v_mov_b32_e32 v110, v88
	v_mov_b32_e32 v111, v83
	v_pk_add_f32 v[110:111], v[0:1], v[110:111]
	s_mov_b32 s50, 0x3e750f2a
	v_pk_add_f32 v[110:111], v[116:117], v[110:111]
	v_pk_mul_f32 v[116:117], v[68:69], s[42:43] op_sel_hi:[1,0]
	s_mov_b32 s46, 0x3f52af12
	v_pk_fma_f32 v[118:119], v[66:67], s[14:15], v[116:117] op_sel:[0,0,1] op_sel_hi:[1,0,0]
	v_pk_fma_f32 v[116:117], v[66:67], s[14:15], v[116:117] op_sel:[0,0,1] op_sel_hi:[1,0,0] neg_lo:[0,0,1] neg_hi:[0,0,1]
	v_mov_b32_e32 v120, v118
	v_mov_b32_e32 v121, v117
	v_pk_add_f32 v[110:111], v[120:121], v[110:111]
	v_pk_mul_f32 v[120:121], v[72:73], s[40:41] op_sel_hi:[1,0]
	v_pk_mul_f32 v[138:139], v[64:65], s[38:39] op_sel_hi:[1,0]
	v_pk_fma_f32 v[122:123], v[70:71], s[12:13], v[120:121] op_sel:[0,0,1] op_sel_hi:[1,0,0]
	v_pk_fma_f32 v[120:121], v[70:71], s[12:13], v[120:121] op_sel:[0,0,1] op_sel_hi:[1,0,0] neg_lo:[0,0,1] neg_hi:[0,0,1]
	v_mov_b32_e32 v124, v122
	v_mov_b32_e32 v125, v121
	v_pk_add_f32 v[110:111], v[124:125], v[110:111]
	v_pk_mul_f32 v[124:125], v[76:77], s[50:51] op_sel_hi:[1,0]
	v_pk_fma_f32 v[140:141], v[62:63], s[12:13], v[138:139] op_sel:[0,0,1] op_sel_hi:[1,0,0]
	v_pk_fma_f32 v[126:127], v[74:75], s[34:35], v[124:125] op_sel:[0,0,1] op_sel_hi:[1,0,0]
	v_pk_fma_f32 v[124:125], v[74:75], s[34:35], v[124:125] op_sel:[0,0,1] op_sel_hi:[1,0,0] neg_lo:[0,0,1] neg_hi:[0,0,1]
	v_mov_b32_e32 v128, v126
	v_mov_b32_e32 v129, v125
	v_pk_add_f32 v[110:111], v[128:129], v[110:111]
	v_pk_mul_f32 v[128:129], v[80:81], s[46:47] op_sel_hi:[1,0]
	v_pk_fma_f32 v[138:139], v[62:63], s[12:13], v[138:139] op_sel:[0,0,1] op_sel_hi:[1,0,0] neg_lo:[0,0,1] neg_hi:[0,0,1]
	v_pk_fma_f32 v[130:131], v[78:79], s[8:9], v[128:129] op_sel:[0,0,1] op_sel_hi:[1,0,0]
	v_pk_fma_f32 v[128:129], v[78:79], s[8:9], v[128:129] op_sel:[0,0,1] op_sel_hi:[1,0,0] neg_lo:[0,0,1] neg_hi:[0,0,1]
	v_mov_b32_e32 v132, v130
	v_mov_b32_e32 v133, v129
	v_pk_add_f32 v[110:111], v[132:133], v[110:111]
	v_pk_mul_f32 v[132:133], v[60:61], s[28:29] op_sel_hi:[1,0]
	v_mov_b32_e32 v142, v140
	v_pk_fma_f32 v[134:135], v[52:53], s[26:27], v[132:133] op_sel:[0,0,1] op_sel_hi:[1,0,0]
	v_pk_fma_f32 v[132:133], v[52:53], s[26:27], v[132:133] op_sel:[0,0,1] op_sel_hi:[1,0,0] neg_lo:[0,0,1] neg_hi:[0,0,1]
	v_mov_b32_e32 v136, v134
	v_mov_b32_e32 v137, v133
	v_pk_add_f32 v[136:137], v[0:1], v[136:137]
	v_mov_b32_e32 v143, v139
	v_pk_add_f32 v[136:137], v[142:143], v[136:137]
	v_pk_mul_f32 v[142:143], v[68:69], s[30:31] op_sel_hi:[1,0]
	v_pk_mul_f32 v[60:61], v[60:61], s[36:37] op_sel_hi:[1,0]
	v_pk_fma_f32 v[144:145], v[66:67], s[8:9], v[142:143] op_sel:[0,0,1] op_sel_hi:[1,0,0]
	v_pk_fma_f32 v[142:143], v[66:67], s[8:9], v[142:143] op_sel:[0,0,1] op_sel_hi:[1,0,0] neg_lo:[0,0,1] neg_hi:[0,0,1]
	v_mov_b32_e32 v146, v144
	v_mov_b32_e32 v147, v143
	v_pk_add_f32 v[136:137], v[146:147], v[136:137]
	v_pk_mul_f32 v[146:147], v[72:73], s[50:51] op_sel_hi:[1,0]
	v_pk_mul_f32 v[68:69], v[68:69], s[28:29] op_sel_hi:[1,0]
	v_pk_fma_f32 v[148:149], v[70:71], s[34:35], v[146:147] op_sel:[0,0,1] op_sel_hi:[1,0,0]
	v_pk_fma_f32 v[146:147], v[70:71], s[34:35], v[146:147] op_sel:[0,0,1] op_sel_hi:[1,0,0] neg_lo:[0,0,1] neg_hi:[0,0,1]
	v_mov_b32_e32 v150, v148
	v_mov_b32_e32 v151, v147
	v_pk_add_f32 v[136:137], v[150:151], v[136:137]
	v_pk_mul_f32 v[150:151], v[76:77], s[42:43] op_sel_hi:[1,0]
	v_mov_b32_e32 v133, v135
	v_pk_fma_f32 v[152:153], v[74:75], s[14:15], v[150:151] op_sel:[0,0,1] op_sel_hi:[1,0,0]
	v_pk_fma_f32 v[150:151], v[74:75], s[14:15], v[150:151] op_sel:[0,0,1] op_sel_hi:[1,0,0] neg_lo:[0,0,1] neg_hi:[0,0,1]
	v_mov_b32_e32 v154, v152
	v_mov_b32_e32 v155, v151
	v_pk_add_f32 v[136:137], v[154:155], v[136:137]
	v_pk_mul_f32 v[154:155], v[80:81], s[18:19] op_sel_hi:[1,0]
	v_mov_b32_e32 v83, v89
	v_pk_fma_f32 v[156:157], v[78:79], s[16:17], v[154:155] op_sel:[0,0,1] op_sel_hi:[1,0,0]
	v_pk_fma_f32 v[154:155], v[78:79], s[16:17], v[154:155] op_sel:[0,0,1] op_sel_hi:[1,0,0] neg_lo:[0,0,1] neg_hi:[0,0,1]
	v_mov_b32_e32 v158, v156
	v_mov_b32_e32 v159, v155
	v_pk_add_f32 v[136:137], v[158:159], v[136:137]
	ds_write2_b64 v162, v[110:111], v[136:137] offset0:4 offset1:5
	v_pk_fma_f32 v[110:111], v[52:53], s[34:35], v[60:61] op_sel:[0,0,1] op_sel_hi:[1,0,0]
	v_pk_fma_f32 v[52:53], v[52:53], s[34:35], v[60:61] op_sel:[0,0,1] op_sel_hi:[1,0,0] neg_lo:[0,0,1] neg_hi:[0,0,1]
	v_pk_mul_f32 v[60:61], v[64:65], s[42:43] op_sel_hi:[1,0]
	v_mov_b32_e32 v139, v141
	v_pk_fma_f32 v[64:65], v[62:63], s[14:15], v[60:61] op_sel:[0,0,1] op_sel_hi:[1,0,0]
	v_pk_fma_f32 v[60:61], v[62:63], s[14:15], v[60:61] op_sel:[0,0,1] op_sel_hi:[1,0,0] neg_lo:[0,0,1] neg_hi:[0,0,1]
	v_mov_b32_e32 v62, v110
	v_mov_b32_e32 v63, v53
	v_pk_add_f32 v[62:63], v[0:1], v[62:63]
	v_mov_b32_e32 v136, v64
	v_mov_b32_e32 v137, v61
	v_pk_add_f32 v[62:63], v[136:137], v[62:63]
	v_pk_fma_f32 v[136:137], v[66:67], s[26:27], v[68:69] op_sel:[0,0,1] op_sel_hi:[1,0,0]
	v_pk_fma_f32 v[66:67], v[66:67], s[26:27], v[68:69] op_sel:[0,0,1] op_sel_hi:[1,0,0] neg_lo:[0,0,1] neg_hi:[0,0,1]
	v_mov_b32_e32 v68, v136
	v_mov_b32_e32 v69, v67
	v_pk_add_f32 v[62:63], v[68:69], v[62:63]
	v_pk_mul_f32 v[68:69], v[72:73], s[46:47] op_sel_hi:[1,0]
	v_mov_b32_e32 v53, v111
	v_pk_fma_f32 v[72:73], v[70:71], s[8:9], v[68:69] op_sel:[0,0,1] op_sel_hi:[1,0,0]
	v_pk_fma_f32 v[68:69], v[70:71], s[8:9], v[68:69] op_sel:[0,0,1] op_sel_hi:[1,0,0] neg_lo:[0,0,1] neg_hi:[0,0,1]
	v_mov_b32_e32 v70, v72
	v_mov_b32_e32 v71, v69
	v_pk_add_f32 v[62:63], v[70:71], v[62:63]
	v_pk_mul_f32 v[70:71], v[76:77], s[18:19] op_sel_hi:[1,0]
	v_mov_b32_e32 v61, v65
	v_pk_fma_f32 v[76:77], v[74:75], s[16:17], v[70:71] op_sel:[0,0,1] op_sel_hi:[1,0,0]
	v_pk_fma_f32 v[70:71], v[74:75], s[16:17], v[70:71] op_sel:[0,0,1] op_sel_hi:[1,0,0] neg_lo:[0,0,1] neg_hi:[0,0,1]
	v_pk_add_f32 v[52:53], v[0:1], v[52:53]
	v_mov_b32_e32 v74, v76
	v_mov_b32_e32 v75, v71
	v_pk_add_f32 v[52:53], v[60:61], v[52:53]
	v_mov_b32_e32 v67, v137
	v_pk_add_f32 v[62:63], v[74:75], v[62:63]
	v_pk_mul_f32 v[74:75], v[80:81], s[38:39] op_sel_hi:[1,0]
	v_pk_add_f32 v[52:53], v[66:67], v[52:53]
	v_mov_b32_e32 v69, v73
	v_pk_fma_f32 v[80:81], v[78:79], s[12:13], v[74:75] op_sel:[0,0,1] op_sel_hi:[1,0,0]
	v_pk_fma_f32 v[74:75], v[78:79], s[12:13], v[74:75] op_sel:[0,0,1] op_sel_hi:[1,0,0] neg_lo:[0,0,1] neg_hi:[0,0,1]
	v_pk_add_f32 v[52:53], v[68:69], v[52:53]
	v_mov_b32_e32 v71, v77
	v_mov_b32_e32 v78, v80
	;; [unrolled: 1-line block ×3, first 2 shown]
	v_pk_add_f32 v[52:53], v[70:71], v[52:53]
	v_mov_b32_e32 v75, v81
	v_pk_add_f32 v[62:63], v[78:79], v[62:63]
	v_pk_add_f32 v[52:53], v[74:75], v[52:53]
	ds_write2_b64 v162, v[62:63], v[52:53] offset0:6 offset1:7
	v_pk_add_f32 v[52:53], v[0:1], v[132:133]
	v_mov_b32_e32 v113, v115
	v_pk_add_f32 v[60:61], v[0:1], v[82:83]
	v_pk_add_f32 v[52:53], v[138:139], v[52:53]
	v_mov_b32_e32 v143, v145
	v_pk_add_f32 v[60:61], v[112:113], v[60:61]
	v_mov_b32_e32 v117, v119
	;; [unrolled: 2-line block ×8, first 2 shown]
	v_pk_add_f32 v[52:53], v[154:155], v[52:53]
	v_pk_add_f32 v[60:61], v[128:129], v[60:61]
	v_mov_b32_e32 v85, v87
	v_mov_b32_e32 v31, v29
	;; [unrolled: 1-line block ×3, first 2 shown]
	ds_write2_b64 v162, v[52:53], v[60:61] offset0:8 offset1:9
	v_pk_add_f32 v[52:53], v[0:1], v[84:85]
	v_pk_add_f32 v[28:29], v[0:1], v[30:31]
	;; [unrolled: 1-line block ×3, first 2 shown]
	v_mov_b32_e32 v11, v9
	v_pk_add_f32 v[0:1], v[10:11], v[0:1]
	v_mov_b32_e32 v15, v13
	v_mov_b32_e32 v91, v93
	;; [unrolled: 1-line block ×3, first 2 shown]
	v_pk_add_f32 v[0:1], v[14:15], v[0:1]
	v_mov_b32_e32 v19, v17
	v_pk_add_f32 v[52:53], v[90:91], v[52:53]
	v_mov_b32_e32 v95, v97
	;; [unrolled: 2-line block ×9, first 2 shown]
	v_pk_add_f32 v[0:1], v[26:27], v[0:1]
	v_pk_add_f32 v[52:53], v[102:103], v[52:53]
	v_mov_b32_e32 v107, v109
	v_pk_add_f32 v[28:29], v[46:47], v[28:29]
	v_mov_b32_e32 v51, v49
	ds_write_b64 v162, v[0:1] offset:96
	v_mul_u32_u24_e32 v0, 12, v160
	v_pk_add_f32 v[52:53], v[106:107], v[52:53]
	v_pk_add_f32 v[28:29], v[50:51], v[28:29]
	v_lshlrev_b32_e32 v0, 3, v0
	ds_write2_b64 v162, v[52:53], v[28:29] offset0:10 offset1:11
	s_waitcnt lgkmcnt(0)
	s_barrier
	global_load_dwordx4 v[4:7], v0, s[24:25] offset:16
	global_load_dwordx4 v[8:11], v0, s[24:25] offset:32
	;; [unrolled: 1-line block ×5, first 2 shown]
	global_load_dwordx4 v[24:27], v0, s[24:25]
	ds_read2_b64 v[28:31], v59 offset0:13 offset1:26
	ds_read_b64 v[0:1], v161
	ds_read_b64 v[48:49], v59 offset:312
	ds_read2_b32 v[50:51], v59 offset0:104 offset1:105
	ds_read2_b64 v[32:35], v59 offset0:65 offset1:78
	ds_read2_b64 v[36:39], v59 offset0:91 offset1:104
	;; [unrolled: 1-line block ×4, first 2 shown]
	s_waitcnt lgkmcnt(4)
	v_mov_b32_e32 v52, v51
	v_mov_b32_e32 v60, v51
	s_waitcnt lgkmcnt(0)
	s_barrier
	s_waitcnt vmcnt(5)
	v_mov_b32_e32 v62, v7
	v_mov_b32_e32 v63, v6
	v_pk_mul_f32 v[6:7], v[6:7], v[50:51] op_sel_hi:[1,0]
	s_nop 0
	v_pk_fma_f32 v[50:51], v[52:53], v[62:63], v[6:7]
	v_pk_fma_f32 v[6:7], v[60:61], v[62:63], v[6:7] op_sel_hi:[0,1,1] neg_lo:[0,0,1] neg_hi:[0,0,1]
	v_mov_b32_e32 v51, v7
	s_waitcnt vmcnt(4)
	v_pk_mul_f32 v[6:7], v[32:33], v[8:9] op_sel:[0,1]
	s_nop 0
	v_pk_fma_f32 v[52:53], v[32:33], v[8:9], v[6:7] op_sel:[0,0,1] op_sel_hi:[1,1,0]
	v_pk_fma_f32 v[6:7], v[32:33], v[8:9], v[6:7] op_sel:[0,0,1] op_sel_hi:[1,0,0] neg_lo:[0,0,1] neg_hi:[0,0,1]
	s_nop 0
	v_mov_b32_e32 v6, v11
	v_mov_b32_e32 v53, v7
	v_pk_mul_f32 v[6:7], v[34:35], v[6:7] op_sel_hi:[1,0]
	s_nop 0
	v_pk_fma_f32 v[32:33], v[34:35], v[10:11], v[6:7] op_sel:[0,0,1] op_sel_hi:[1,1,0]
	v_pk_fma_f32 v[6:7], v[34:35], v[10:11], v[6:7] op_sel:[0,0,1] op_sel_hi:[1,0,0] neg_lo:[0,0,1] neg_hi:[0,0,1]
	s_nop 0
	v_mov_b32_e32 v33, v7
	s_waitcnt vmcnt(3)
	v_pk_mul_f32 v[6:7], v[36:37], v[12:13] op_sel:[0,1]
	s_nop 0
	v_pk_fma_f32 v[34:35], v[36:37], v[12:13], v[6:7] op_sel:[0,0,1] op_sel_hi:[1,1,0]
	v_pk_fma_f32 v[6:7], v[36:37], v[12:13], v[6:7] op_sel:[0,0,1] op_sel_hi:[1,0,0] neg_lo:[0,0,1] neg_hi:[0,0,1]
	s_nop 0
	v_mov_b32_e32 v6, v15
	v_mov_b32_e32 v35, v7
	v_pk_mul_f32 v[6:7], v[38:39], v[6:7] op_sel_hi:[1,0]
	v_pk_add_f32 v[68:69], v[32:33], v[34:35] neg_lo:[0,1] neg_hi:[0,1]
	v_pk_fma_f32 v[36:37], v[38:39], v[14:15], v[6:7] op_sel:[0,0,1] op_sel_hi:[1,1,0]
	v_pk_fma_f32 v[6:7], v[38:39], v[14:15], v[6:7] op_sel:[0,0,1] op_sel_hi:[1,0,0] neg_lo:[0,0,1] neg_hi:[0,0,1]
	s_waitcnt vmcnt(0)
	v_pk_mul_f32 v[14:15], v[24:25], v[28:29] op_sel_hi:[1,0]
	v_mov_b32_e32 v37, v7
	v_pk_mul_f32 v[6:7], v[40:41], v[16:17] op_sel:[0,1]
	v_pk_add_f32 v[64:65], v[52:53], v[36:37]
	v_pk_fma_f32 v[38:39], v[40:41], v[16:17], v[6:7] op_sel:[0,0,1] op_sel_hi:[1,1,0]
	v_pk_fma_f32 v[6:7], v[40:41], v[16:17], v[6:7] op_sel:[0,0,1] op_sel_hi:[1,0,0] neg_lo:[0,0,1] neg_hi:[0,0,1]
	v_pk_add_f32 v[66:67], v[32:33], v[34:35]
	v_mov_b32_e32 v6, v19
	v_mov_b32_e32 v39, v7
	v_pk_mul_f32 v[6:7], v[42:43], v[6:7] op_sel_hi:[1,0]
	v_pk_add_f32 v[62:63], v[50:51], v[38:39]
	v_pk_fma_f32 v[12:13], v[42:43], v[18:19], v[6:7] op_sel:[0,0,1] op_sel_hi:[1,1,0]
	v_pk_fma_f32 v[6:7], v[42:43], v[18:19], v[6:7] op_sel:[0,0,1] op_sel_hi:[1,0,0] neg_lo:[0,0,1] neg_hi:[0,0,1]
	s_nop 0
	v_mov_b32_e32 v13, v7
	v_pk_mul_f32 v[6:7], v[44:45], v[20:21] op_sel:[0,1]
	s_nop 0
	v_pk_fma_f32 v[8:9], v[44:45], v[20:21], v[6:7] op_sel:[0,0,1] op_sel_hi:[1,1,0]
	v_pk_fma_f32 v[6:7], v[44:45], v[20:21], v[6:7] op_sel:[0,0,1] op_sel_hi:[1,0,0] neg_lo:[0,0,1] neg_hi:[0,0,1]
	s_nop 0
	v_mov_b32_e32 v6, v23
	v_mov_b32_e32 v9, v7
	v_pk_mul_f32 v[6:7], v[46:47], v[6:7] op_sel_hi:[1,0]
	s_nop 0
	v_pk_fma_f32 v[10:11], v[46:47], v[22:23], v[6:7] op_sel:[0,0,1] op_sel_hi:[1,1,0]
	v_pk_fma_f32 v[6:7], v[46:47], v[22:23], v[6:7] op_sel:[0,0,1] op_sel_hi:[1,0,0] neg_lo:[0,0,1] neg_hi:[0,0,1]
	s_nop 0
	v_mov_b32_e32 v6, v29
	v_mov_b32_e32 v11, v7
	v_pk_fma_f32 v[6:7], v[24:25], v[6:7], v[14:15] op_sel:[1,0,0] op_sel_hi:[0,1,1]
	v_pk_fma_f32 v[14:15], v[24:25], v[28:29], v[14:15] op_sel:[1,1,0] op_sel_hi:[0,1,1] neg_lo:[0,0,1] neg_hi:[0,0,1]
	v_mov_b32_e32 v7, v15
	v_pk_mul_f32 v[14:15], v[26:27], v[30:31] op_sel:[0,1]
	v_pk_add_f32 v[42:43], v[6:7], v[10:11] neg_lo:[0,1] neg_hi:[0,1]
	v_pk_fma_f32 v[16:17], v[26:27], v[30:31], v[14:15] op_sel:[0,0,1] op_sel_hi:[1,1,0]
	v_pk_fma_f32 v[14:15], v[26:27], v[30:31], v[14:15] op_sel:[0,0,1] op_sel_hi:[1,0,0] neg_lo:[1,0,0] neg_hi:[1,0,0]
	v_pk_add_f32 v[40:41], v[6:7], v[10:11]
	v_mov_b32_e32 v17, v15
	v_pk_mul_f32 v[14:15], v[4:5], v[48:49] op_sel:[0,1]
	v_pk_add_f32 v[46:47], v[16:17], v[8:9] neg_lo:[0,1] neg_hi:[0,1]
	v_pk_fma_f32 v[18:19], v[4:5], v[48:49], v[14:15] op_sel:[0,0,1] op_sel_hi:[1,1,0]
	v_pk_fma_f32 v[4:5], v[4:5], v[48:49], v[14:15] op_sel:[0,0,1] op_sel_hi:[1,0,0] neg_lo:[1,0,0] neg_hi:[1,0,0]
	v_pk_add_f32 v[44:45], v[16:17], v[8:9]
	v_mov_b32_e32 v19, v5
	v_pk_add_f32 v[4:5], v[6:7], v[0:1]
	v_pk_mul_f32 v[6:7], v[42:43], s[48:49] op_sel_hi:[1,0]
	v_pk_add_f32 v[4:5], v[4:5], v[16:17]
	v_pk_add_f32 v[60:61], v[18:19], v[12:13] neg_lo:[0,1] neg_hi:[0,1]
	v_pk_add_f32 v[4:5], v[4:5], v[18:19]
	v_pk_add_f32 v[48:49], v[18:19], v[12:13]
	;; [unrolled: 1-line block ×3, first 2 shown]
	v_pk_add_f32 v[50:51], v[50:51], v[38:39] neg_lo:[0,1] neg_hi:[0,1]
	v_pk_add_f32 v[4:5], v[4:5], v[52:53]
	v_pk_add_f32 v[52:53], v[52:53], v[36:37] neg_lo:[0,1] neg_hi:[0,1]
	v_pk_add_f32 v[4:5], v[4:5], v[32:33]
	v_pk_mul_f32 v[90:91], v[46:47], s[36:37] op_sel_hi:[1,0]
	v_pk_add_f32 v[4:5], v[4:5], v[34:35]
	v_pk_mul_f32 v[34:35], v[46:47], s[18:19] op_sel_hi:[1,0]
	v_pk_add_f32 v[4:5], v[4:5], v[36:37]
	v_pk_fma_f32 v[92:93], v[44:45], s[34:35], v[90:91] op_sel:[0,0,1] op_sel_hi:[1,0,0]
	v_pk_add_f32 v[4:5], v[4:5], v[38:39]
	v_pk_fma_f32 v[90:91], v[44:45], s[34:35], v[90:91] op_sel:[0,0,1] op_sel_hi:[1,0,0] neg_lo:[0,0,1] neg_hi:[0,0,1]
	v_pk_add_f32 v[4:5], v[4:5], v[12:13]
	v_mov_b32_e32 v94, v92
	v_pk_add_f32 v[4:5], v[4:5], v[8:9]
	v_mov_b32_e32 v95, v91
	v_pk_add_f32 v[28:29], v[4:5], v[10:11]
	v_pk_fma_f32 v[4:5], v[40:41], s[14:15], v[6:7] op_sel:[0,0,1] op_sel_hi:[1,0,0]
	v_pk_fma_f32 v[6:7], v[40:41], s[14:15], v[6:7] op_sel:[0,0,1] op_sel_hi:[1,0,0] neg_lo:[0,0,1] neg_hi:[0,0,1]
	v_mov_b32_e32 v10, v4
	v_mov_b32_e32 v11, v7
	v_pk_add_f32 v[14:15], v[10:11], v[0:1]
	v_pk_mul_f32 v[10:11], v[46:47], s[30:31] op_sel_hi:[1,0]
	v_pk_mul_f32 v[112:113], v[46:47], s[44:45] op_sel_hi:[1,0]
	v_pk_fma_f32 v[8:9], v[44:45], s[8:9], v[10:11] op_sel:[0,0,1] op_sel_hi:[1,0,0]
	v_pk_fma_f32 v[10:11], v[44:45], s[8:9], v[10:11] op_sel:[0,0,1] op_sel_hi:[1,0,0] neg_lo:[0,0,1] neg_hi:[0,0,1]
	v_mov_b32_e32 v16, v8
	v_mov_b32_e32 v17, v11
	v_pk_add_f32 v[16:17], v[16:17], v[14:15]
	v_pk_mul_f32 v[14:15], v[60:61], s[40:41] op_sel_hi:[1,0]
	v_pk_fma_f32 v[114:115], v[44:45], s[26:27], v[112:113] op_sel:[0,0,1] op_sel_hi:[1,0,0]
	v_pk_fma_f32 v[12:13], v[48:49], s[12:13], v[14:15] op_sel:[0,0,1] op_sel_hi:[1,0,0]
	v_pk_fma_f32 v[14:15], v[48:49], s[12:13], v[14:15] op_sel:[0,0,1] op_sel_hi:[1,0,0] neg_lo:[0,0,1] neg_hi:[0,0,1]
	v_mov_b32_e32 v18, v12
	v_mov_b32_e32 v19, v15
	v_pk_add_f32 v[20:21], v[18:19], v[16:17]
	v_pk_mul_f32 v[18:19], v[50:51], s[18:19] op_sel_hi:[1,0]
	v_pk_fma_f32 v[112:113], v[44:45], s[26:27], v[112:113] op_sel:[0,0,1] op_sel_hi:[1,0,0] neg_lo:[0,0,1] neg_hi:[0,0,1]
	v_pk_fma_f32 v[16:17], v[62:63], s[16:17], v[18:19] op_sel:[0,0,1] op_sel_hi:[1,0,0]
	v_pk_fma_f32 v[18:19], v[62:63], s[16:17], v[18:19] op_sel:[0,0,1] op_sel_hi:[1,0,0] neg_lo:[0,0,1] neg_hi:[0,0,1]
	v_mov_b32_e32 v22, v16
	v_mov_b32_e32 v23, v19
	v_pk_add_f32 v[24:25], v[22:23], v[20:21]
	v_pk_mul_f32 v[22:23], v[52:53], s[28:29] op_sel_hi:[1,0]
	v_mov_b32_e32 v116, v114
	v_pk_fma_f32 v[20:21], v[64:65], s[26:27], v[22:23] op_sel:[0,0,1] op_sel_hi:[1,0,0]
	v_pk_fma_f32 v[22:23], v[64:65], s[26:27], v[22:23] op_sel:[0,0,1] op_sel_hi:[1,0,0] neg_lo:[0,0,1] neg_hi:[0,0,1]
	v_mov_b32_e32 v26, v20
	v_mov_b32_e32 v27, v23
	v_pk_add_f32 v[30:31], v[26:27], v[24:25]
	v_pk_mul_f32 v[26:27], v[68:69], s[36:37] op_sel_hi:[1,0]
	v_mov_b32_e32 v117, v113
	v_pk_fma_f32 v[24:25], v[66:67], s[34:35], v[26:27] op_sel:[0,0,1] op_sel_hi:[1,0,0]
	v_pk_fma_f32 v[26:27], v[66:67], s[34:35], v[26:27] op_sel:[0,0,1] op_sel_hi:[1,0,0] neg_lo:[0,0,1] neg_hi:[0,0,1]
	v_mov_b32_e32 v32, v24
	v_mov_b32_e32 v33, v27
	v_pk_add_f32 v[30:31], v[32:33], v[30:31]
	ds_write2_b64 v59, v[28:29], v[30:31] offset1:13
	v_pk_mul_f32 v[30:31], v[42:43], s[30:31] op_sel_hi:[1,0]
	v_pk_mul_f32 v[138:139], v[46:47], s[38:39] op_sel_hi:[1,0]
	v_pk_fma_f32 v[28:29], v[40:41], s[8:9], v[30:31] op_sel:[0,0,1] op_sel_hi:[1,0,0]
	v_pk_fma_f32 v[30:31], v[40:41], s[8:9], v[30:31] op_sel:[0,0,1] op_sel_hi:[1,0,0] neg_lo:[0,0,1] neg_hi:[0,0,1]
	v_mov_b32_e32 v32, v28
	v_mov_b32_e32 v33, v31
	v_pk_add_f32 v[36:37], v[32:33], v[0:1]
	v_pk_fma_f32 v[32:33], v[44:45], s[16:17], v[34:35] op_sel:[0,0,1] op_sel_hi:[1,0,0]
	v_pk_fma_f32 v[34:35], v[44:45], s[16:17], v[34:35] op_sel:[0,0,1] op_sel_hi:[1,0,0] neg_lo:[0,0,1] neg_hi:[0,0,1]
	v_mov_b32_e32 v38, v32
	v_mov_b32_e32 v39, v35
	v_pk_add_f32 v[70:71], v[38:39], v[36:37]
	v_pk_mul_f32 v[38:39], v[60:61], s[36:37] op_sel_hi:[1,0]
	v_pk_fma_f32 v[140:141], v[44:45], s[12:13], v[138:139] op_sel:[0,0,1] op_sel_hi:[1,0,0]
	v_pk_fma_f32 v[36:37], v[48:49], s[34:35], v[38:39] op_sel:[0,0,1] op_sel_hi:[1,0,0]
	v_pk_fma_f32 v[38:39], v[48:49], s[34:35], v[38:39] op_sel:[0,0,1] op_sel_hi:[1,0,0] neg_lo:[0,0,1] neg_hi:[0,0,1]
	v_mov_b32_e32 v72, v36
	v_mov_b32_e32 v73, v39
	v_pk_add_f32 v[70:71], v[72:73], v[70:71]
	v_pk_mul_f32 v[72:73], v[50:51], s[44:45] op_sel_hi:[1,0]
	v_pk_fma_f32 v[138:139], v[44:45], s[12:13], v[138:139] op_sel:[0,0,1] op_sel_hi:[1,0,0] neg_lo:[0,0,1] neg_hi:[0,0,1]
	v_pk_fma_f32 v[74:75], v[62:63], s[26:27], v[72:73] op_sel:[0,0,1] op_sel_hi:[1,0,0]
	v_pk_fma_f32 v[72:73], v[62:63], s[26:27], v[72:73] op_sel:[0,0,1] op_sel_hi:[1,0,0] neg_lo:[0,0,1] neg_hi:[0,0,1]
	v_mov_b32_e32 v76, v74
	v_mov_b32_e32 v77, v73
	v_pk_add_f32 v[70:71], v[76:77], v[70:71]
	v_pk_mul_f32 v[76:77], v[52:53], s[38:39] op_sel_hi:[1,0]
	v_mov_b32_e32 v142, v140
	v_pk_fma_f32 v[78:79], v[64:65], s[12:13], v[76:77] op_sel:[0,0,1] op_sel_hi:[1,0,0]
	v_pk_fma_f32 v[76:77], v[64:65], s[12:13], v[76:77] op_sel:[0,0,1] op_sel_hi:[1,0,0] neg_lo:[0,0,1] neg_hi:[0,0,1]
	v_mov_b32_e32 v80, v78
	v_mov_b32_e32 v81, v77
	v_pk_add_f32 v[70:71], v[80:81], v[70:71]
	v_pk_mul_f32 v[80:81], v[68:69], s[42:43] op_sel_hi:[1,0]
	v_mov_b32_e32 v143, v139
	;; [unrolled: 7-line block ×3, first 2 shown]
	v_pk_fma_f32 v[86:87], v[40:41], s[12:13], v[84:85] op_sel:[0,0,1] op_sel_hi:[1,0,0]
	v_pk_fma_f32 v[84:85], v[40:41], s[12:13], v[84:85] op_sel:[0,0,1] op_sel_hi:[1,0,0] neg_lo:[0,0,1] neg_hi:[0,0,1]
	v_mov_b32_e32 v88, v86
	v_mov_b32_e32 v89, v85
	v_pk_add_f32 v[88:89], v[88:89], v[0:1]
	v_mov_b32_e32 v113, v115
	v_pk_add_f32 v[88:89], v[94:95], v[88:89]
	v_pk_mul_f32 v[94:95], v[60:61], s[52:53] op_sel_hi:[1,0]
	v_mov_b32_e32 v85, v87
	v_pk_fma_f32 v[96:97], v[48:49], s[16:17], v[94:95] op_sel:[0,0,1] op_sel_hi:[1,0,0]
	v_pk_fma_f32 v[94:95], v[48:49], s[16:17], v[94:95] op_sel:[0,0,1] op_sel_hi:[1,0,0] neg_lo:[0,0,1] neg_hi:[0,0,1]
	v_mov_b32_e32 v98, v96
	v_mov_b32_e32 v99, v95
	v_pk_add_f32 v[88:89], v[98:99], v[88:89]
	v_pk_mul_f32 v[98:99], v[50:51], s[42:43] op_sel_hi:[1,0]
	v_mov_b32_e32 v31, v29
	v_pk_fma_f32 v[100:101], v[62:63], s[14:15], v[98:99] op_sel:[0,0,1] op_sel_hi:[1,0,0]
	v_pk_fma_f32 v[98:99], v[62:63], s[14:15], v[98:99] op_sel:[0,0,1] op_sel_hi:[1,0,0] neg_lo:[0,0,1] neg_hi:[0,0,1]
	v_mov_b32_e32 v102, v100
	v_mov_b32_e32 v103, v99
	v_pk_add_f32 v[88:89], v[102:103], v[88:89]
	v_pk_mul_f32 v[102:103], v[52:53], s[30:31] op_sel_hi:[1,0]
	v_mov_b32_e32 v7, v5
	v_pk_fma_f32 v[104:105], v[64:65], s[8:9], v[102:103] op_sel:[0,0,1] op_sel_hi:[1,0,0]
	v_pk_fma_f32 v[102:103], v[64:65], s[8:9], v[102:103] op_sel:[0,0,1] op_sel_hi:[1,0,0] neg_lo:[0,0,1] neg_hi:[0,0,1]
	v_mov_b32_e32 v106, v104
	v_mov_b32_e32 v107, v103
	v_pk_add_f32 v[88:89], v[106:107], v[88:89]
	v_pk_mul_f32 v[106:107], v[68:69], s[28:29] op_sel_hi:[1,0]
	v_mov_b32_e32 v91, v93
	v_pk_fma_f32 v[108:109], v[66:67], s[26:27], v[106:107] op_sel:[0,0,1] op_sel_hi:[1,0,0]
	v_pk_fma_f32 v[106:107], v[66:67], s[26:27], v[106:107] op_sel:[0,0,1] op_sel_hi:[1,0,0] neg_lo:[0,0,1] neg_hi:[0,0,1]
	v_mov_b32_e32 v110, v108
	v_mov_b32_e32 v111, v107
	v_pk_add_f32 v[88:89], v[110:111], v[88:89]
	ds_write2_b64 v59, v[70:71], v[88:89] offset0:26 offset1:39
	v_pk_mul_f32 v[70:71], v[42:43], s[18:19] op_sel_hi:[1,0]
	v_pk_add_f32 v[28:29], v[30:31], v[0:1]
	v_pk_fma_f32 v[88:89], v[40:41], s[16:17], v[70:71] op_sel:[0,0,1] op_sel_hi:[1,0,0]
	v_pk_fma_f32 v[70:71], v[40:41], s[16:17], v[70:71] op_sel:[0,0,1] op_sel_hi:[1,0,0] neg_lo:[0,0,1] neg_hi:[0,0,1]
	v_mov_b32_e32 v110, v88
	v_mov_b32_e32 v111, v71
	v_pk_add_f32 v[110:111], v[110:111], v[0:1]
	v_mov_b32_e32 v71, v89
	v_pk_add_f32 v[110:111], v[116:117], v[110:111]
	v_pk_mul_f32 v[116:117], v[60:61], s[42:43] op_sel_hi:[1,0]
	v_mov_b32_e32 v35, v33
	v_pk_fma_f32 v[118:119], v[48:49], s[14:15], v[116:117] op_sel:[0,0,1] op_sel_hi:[1,0,0]
	v_pk_fma_f32 v[116:117], v[48:49], s[14:15], v[116:117] op_sel:[0,0,1] op_sel_hi:[1,0,0] neg_lo:[0,0,1] neg_hi:[0,0,1]
	v_mov_b32_e32 v120, v118
	v_mov_b32_e32 v121, v117
	v_pk_add_f32 v[110:111], v[120:121], v[110:111]
	v_pk_mul_f32 v[120:121], v[50:51], s[40:41] op_sel_hi:[1,0]
	v_mov_b32_e32 v117, v119
	v_pk_fma_f32 v[122:123], v[62:63], s[12:13], v[120:121] op_sel:[0,0,1] op_sel_hi:[1,0,0]
	v_pk_fma_f32 v[120:121], v[62:63], s[12:13], v[120:121] op_sel:[0,0,1] op_sel_hi:[1,0,0] neg_lo:[0,0,1] neg_hi:[0,0,1]
	v_mov_b32_e32 v124, v122
	;; [unrolled: 7-line block ×4, first 2 shown]
	v_mov_b32_e32 v133, v129
	v_pk_add_f32 v[110:111], v[132:133], v[110:111]
	v_pk_mul_f32 v[132:133], v[42:43], s[28:29] op_sel_hi:[1,0]
	v_pk_mul_f32 v[42:43], v[42:43], s[36:37] op_sel_hi:[1,0]
	v_pk_fma_f32 v[134:135], v[40:41], s[26:27], v[132:133] op_sel:[0,0,1] op_sel_hi:[1,0,0]
	v_pk_fma_f32 v[132:133], v[40:41], s[26:27], v[132:133] op_sel:[0,0,1] op_sel_hi:[1,0,0] neg_lo:[0,0,1] neg_hi:[0,0,1]
	v_mov_b32_e32 v136, v134
	v_mov_b32_e32 v137, v133
	v_pk_add_f32 v[136:137], v[136:137], v[0:1]
	v_mov_b32_e32 v133, v135
	v_pk_add_f32 v[136:137], v[142:143], v[136:137]
	v_pk_mul_f32 v[142:143], v[60:61], s[30:31] op_sel_hi:[1,0]
	v_pk_mul_f32 v[60:61], v[60:61], s[28:29] op_sel_hi:[1,0]
	v_pk_fma_f32 v[144:145], v[48:49], s[8:9], v[142:143] op_sel:[0,0,1] op_sel_hi:[1,0,0]
	v_pk_fma_f32 v[142:143], v[48:49], s[8:9], v[142:143] op_sel:[0,0,1] op_sel_hi:[1,0,0] neg_lo:[0,0,1] neg_hi:[0,0,1]
	v_mov_b32_e32 v146, v144
	v_mov_b32_e32 v147, v143
	v_pk_add_f32 v[136:137], v[146:147], v[136:137]
	v_pk_mul_f32 v[146:147], v[50:51], s[50:51] op_sel_hi:[1,0]
	v_pk_mul_f32 v[50:51], v[50:51], s[46:47] op_sel_hi:[1,0]
	v_pk_fma_f32 v[148:149], v[62:63], s[34:35], v[146:147] op_sel:[0,0,1] op_sel_hi:[1,0,0]
	v_pk_fma_f32 v[146:147], v[62:63], s[34:35], v[146:147] op_sel:[0,0,1] op_sel_hi:[1,0,0] neg_lo:[0,0,1] neg_hi:[0,0,1]
	v_mov_b32_e32 v150, v148
	;; [unrolled: 7-line block ×3, first 2 shown]
	v_mov_b32_e32 v155, v151
	v_pk_add_f32 v[136:137], v[154:155], v[136:137]
	v_pk_mul_f32 v[154:155], v[68:69], s[18:19] op_sel_hi:[1,0]
	v_mov_b32_e32 v143, v145
	v_pk_fma_f32 v[156:157], v[66:67], s[16:17], v[154:155] op_sel:[0,0,1] op_sel_hi:[1,0,0]
	v_pk_fma_f32 v[154:155], v[66:67], s[16:17], v[154:155] op_sel:[0,0,1] op_sel_hi:[1,0,0] neg_lo:[0,0,1] neg_hi:[0,0,1]
	v_mov_b32_e32 v158, v156
	v_mov_b32_e32 v159, v155
	v_pk_add_f32 v[136:137], v[158:159], v[136:137]
	ds_write2_b64 v59, v[110:111], v[136:137] offset0:52 offset1:65
	v_pk_fma_f32 v[110:111], v[40:41], s[34:35], v[42:43] op_sel:[0,0,1] op_sel_hi:[1,0,0]
	v_pk_fma_f32 v[40:41], v[40:41], s[34:35], v[42:43] op_sel:[0,0,1] op_sel_hi:[1,0,0] neg_lo:[0,0,1] neg_hi:[0,0,1]
	v_pk_mul_f32 v[42:43], v[46:47], s[42:43] op_sel_hi:[1,0]
	v_mov_b32_e32 v147, v149
	v_pk_fma_f32 v[46:47], v[44:45], s[14:15], v[42:43] op_sel:[0,0,1] op_sel_hi:[1,0,0]
	v_pk_fma_f32 v[42:43], v[44:45], s[14:15], v[42:43] op_sel:[0,0,1] op_sel_hi:[1,0,0] neg_lo:[0,0,1] neg_hi:[0,0,1]
	v_mov_b32_e32 v44, v110
	v_mov_b32_e32 v45, v41
	v_pk_add_f32 v[44:45], v[44:45], v[0:1]
	v_mov_b32_e32 v136, v46
	v_mov_b32_e32 v137, v43
	v_pk_add_f32 v[44:45], v[136:137], v[44:45]
	v_pk_fma_f32 v[136:137], v[48:49], s[26:27], v[60:61] op_sel:[0,0,1] op_sel_hi:[1,0,0]
	v_pk_fma_f32 v[48:49], v[48:49], s[26:27], v[60:61] op_sel:[0,0,1] op_sel_hi:[1,0,0] neg_lo:[0,0,1] neg_hi:[0,0,1]
	v_mov_b32_e32 v60, v136
	v_mov_b32_e32 v61, v49
	v_pk_add_f32 v[44:45], v[60:61], v[44:45]
	v_pk_fma_f32 v[60:61], v[62:63], s[8:9], v[50:51] op_sel:[0,0,1] op_sel_hi:[1,0,0]
	v_pk_fma_f32 v[50:51], v[62:63], s[8:9], v[50:51] op_sel:[0,0,1] op_sel_hi:[1,0,0] neg_lo:[0,0,1] neg_hi:[0,0,1]
	v_mov_b32_e32 v62, v60
	v_mov_b32_e32 v63, v51
	;; [unrolled: 1-line block ×3, first 2 shown]
	v_pk_add_f32 v[44:45], v[62:63], v[44:45]
	v_pk_fma_f32 v[62:63], v[64:65], s[16:17], v[52:53] op_sel:[0,0,1] op_sel_hi:[1,0,0]
	v_pk_fma_f32 v[52:53], v[64:65], s[16:17], v[52:53] op_sel:[0,0,1] op_sel_hi:[1,0,0] neg_lo:[0,0,1] neg_hi:[0,0,1]
	v_mov_b32_e32 v43, v47
	v_pk_add_f32 v[40:41], v[40:41], v[0:1]
	v_mov_b32_e32 v64, v62
	v_mov_b32_e32 v65, v53
	v_pk_add_f32 v[40:41], v[42:43], v[40:41]
	v_mov_b32_e32 v49, v137
	v_pk_add_f32 v[44:45], v[64:65], v[44:45]
	v_pk_mul_f32 v[64:65], v[68:69], s[38:39] op_sel_hi:[1,0]
	v_pk_add_f32 v[40:41], v[48:49], v[40:41]
	v_mov_b32_e32 v51, v61
	v_pk_fma_f32 v[68:69], v[66:67], s[12:13], v[64:65] op_sel:[0,0,1] op_sel_hi:[1,0,0]
	v_pk_fma_f32 v[64:65], v[66:67], s[12:13], v[64:65] op_sel:[0,0,1] op_sel_hi:[1,0,0] neg_lo:[0,0,1] neg_hi:[0,0,1]
	v_pk_add_f32 v[40:41], v[50:51], v[40:41]
	v_mov_b32_e32 v53, v63
	v_mov_b32_e32 v66, v68
	;; [unrolled: 1-line block ×3, first 2 shown]
	v_pk_add_f32 v[40:41], v[52:53], v[40:41]
	v_mov_b32_e32 v65, v69
	v_pk_add_f32 v[44:45], v[66:67], v[44:45]
	v_pk_add_f32 v[40:41], v[64:65], v[40:41]
	ds_write2_b64 v59, v[44:45], v[40:41] offset0:78 offset1:91
	v_pk_add_f32 v[40:41], v[132:133], v[0:1]
	v_pk_add_f32 v[42:43], v[70:71], v[0:1]
	;; [unrolled: 1-line block ×7, first 2 shown]
	v_mov_b32_e32 v151, v153
	v_pk_add_f32 v[42:43], v[120:121], v[42:43]
	v_pk_add_f32 v[40:41], v[150:151], v[40:41]
	v_mov_b32_e32 v155, v157
	v_pk_add_f32 v[42:43], v[124:125], v[42:43]
	v_mov_b32_e32 v129, v131
	v_pk_add_f32 v[40:41], v[154:155], v[40:41]
	v_pk_add_f32 v[42:43], v[128:129], v[42:43]
	ds_write2_b64 v59, v[40:41], v[42:43] offset0:104 offset1:117
	v_pk_add_f32 v[40:41], v[84:85], v[0:1]
	v_pk_add_f32 v[0:1], v[6:7], v[0:1]
	v_mov_b32_e32 v11, v9
	v_pk_add_f32 v[40:41], v[90:91], v[40:41]
	v_mov_b32_e32 v95, v97
	;; [unrolled: 2-line block ×13, first 2 shown]
	v_pk_add_f32 v[40:41], v[106:107], v[40:41]
	v_pk_add_f32 v[28:29], v[80:81], v[28:29]
	;; [unrolled: 1-line block ×3, first 2 shown]
	ds_write2_b64 v59, v[40:41], v[28:29] offset0:130 offset1:143
	ds_write_b64 v59, v[0:1] offset:1248
	s_waitcnt lgkmcnt(0)
	s_barrier
	s_and_saveexec_b64 s[8:9], s[0:1]
	s_cbranch_execz .LBB0_16
; %bb.15:
	s_mul_i32 s0, s3, s22
	s_mul_hi_u32 s1, s2, s22
	s_add_i32 s1, s1, s0
	s_mul_i32 s0, s2, s22
	v_mad_u64_u32 v[0:1], s[2:3], s6, v2, 0
	v_mov_b32_e32 v4, v1
	v_mad_u64_u32 v[4:5], s[2:3], s7, v2, v[4:5]
	v_mad_u64_u32 v[8:9], s[2:3], s4, v54, 0
	v_mov_b32_e32 v1, v4
	v_mov_b32_e32 v4, v9
	v_mad_u64_u32 v[4:5], s[2:3], s5, v54, v[4:5]
	v_mul_u32_u24_e32 v2, 0x548, v2
	s_lshl_b64 s[0:1], s[0:1], 3
	v_add3_u32 v12, 0, v2, v58
	s_add_u32 s2, s10, s0
	v_mov_b32_e32 v9, v4
	s_addc_u32 s3, s11, s1
	s_lshl_b64 s[0:1], s[20:21], 3
	ds_read2_b64 v[4:7], v12 offset1:13
	s_add_u32 s0, s2, s0
	s_addc_u32 s1, s3, s1
	v_lshl_add_u64 v[10:11], v[0:1], 3, s[0:1]
	v_lshl_add_u64 v[0:1], v[8:9], 3, v[10:11]
	s_waitcnt lgkmcnt(0)
	global_store_dwordx2 v[0:1], v[4:5], off
	v_mad_u64_u32 v[0:1], s[0:1], s4, v57, 0
	v_mov_b32_e32 v2, v1
	v_mad_u64_u32 v[4:5], s[0:1], s5, v57, v[2:3]
	v_mov_b32_e32 v1, v4
	v_lshl_add_u64 v[0:1], v[0:1], 3, v[10:11]
	global_store_dwordx2 v[0:1], v[6:7], off
	v_mad_u64_u32 v[0:1], s[0:1], s4, v56, 0
	ds_read2_b64 v[4:7], v12 offset0:26 offset1:39
	v_mov_b32_e32 v2, v1
	v_mad_u64_u32 v[8:9], s[0:1], s5, v56, v[2:3]
	v_mov_b32_e32 v1, v8
	v_lshl_add_u64 v[0:1], v[0:1], 3, v[10:11]
	s_waitcnt lgkmcnt(0)
	global_store_dwordx2 v[0:1], v[4:5], off
	v_mad_u64_u32 v[0:1], s[0:1], s4, v55, 0
	v_mov_b32_e32 v2, v1
	v_mad_u64_u32 v[4:5], s[0:1], s5, v55, v[2:3]
	v_mov_b32_e32 v1, v4
	v_lshl_add_u64 v[0:1], v[0:1], 3, v[10:11]
	global_store_dwordx2 v[0:1], v[6:7], off
	v_mad_u64_u32 v[0:1], s[0:1], s4, v3, 0
	ds_read2_b64 v[4:7], v12 offset0:52 offset1:65
	v_mov_b32_e32 v2, v1
	v_mad_u64_u32 v[2:3], s[0:1], s5, v3, v[2:3]
	v_mov_b32_e32 v1, v2
	v_lshl_add_u64 v[0:1], v[0:1], 3, v[10:11]
	v_add_u32_e32 v3, 0x41, v54
	s_waitcnt lgkmcnt(0)
	global_store_dwordx2 v[0:1], v[4:5], off
	v_mad_u64_u32 v[0:1], s[0:1], s4, v3, 0
	v_mov_b32_e32 v2, v1
	v_mad_u64_u32 v[2:3], s[0:1], s5, v3, v[2:3]
	v_mov_b32_e32 v1, v2
	v_lshl_add_u64 v[0:1], v[0:1], 3, v[10:11]
	global_store_dwordx2 v[0:1], v[6:7], off
	v_add_u32_e32 v7, 0x4e, v54
	v_mad_u64_u32 v[4:5], s[0:1], s4, v7, 0
	ds_read2_b64 v[0:3], v12 offset0:78 offset1:91
	v_mov_b32_e32 v6, v5
	v_mad_u64_u32 v[6:7], s[0:1], s5, v7, v[6:7]
	v_mov_b32_e32 v5, v6
	v_lshl_add_u64 v[4:5], v[4:5], 3, v[10:11]
	s_waitcnt lgkmcnt(0)
	global_store_dwordx2 v[4:5], v[0:1], off
	v_add_u32_e32 v5, 0x5b, v54
	v_mad_u64_u32 v[0:1], s[0:1], s4, v5, 0
	v_mov_b32_e32 v4, v1
	v_mad_u64_u32 v[4:5], s[0:1], s5, v5, v[4:5]
	v_mov_b32_e32 v1, v4
	v_lshl_add_u64 v[0:1], v[0:1], 3, v[10:11]
	v_add_u32_e32 v7, 0x68, v54
	global_store_dwordx2 v[0:1], v[2:3], off
	v_mad_u64_u32 v[4:5], s[0:1], s4, v7, 0
	ds_read2_b64 v[0:3], v12 offset0:104 offset1:117
	v_mov_b32_e32 v6, v5
	v_mad_u64_u32 v[6:7], s[0:1], s5, v7, v[6:7]
	v_mov_b32_e32 v5, v6
	v_lshl_add_u64 v[4:5], v[4:5], 3, v[10:11]
	s_waitcnt lgkmcnt(0)
	global_store_dwordx2 v[4:5], v[0:1], off
	v_add_u32_e32 v5, 0x75, v54
	v_mad_u64_u32 v[0:1], s[0:1], s4, v5, 0
	v_mov_b32_e32 v4, v1
	v_mad_u64_u32 v[4:5], s[0:1], s5, v5, v[4:5]
	v_mov_b32_e32 v1, v4
	v_lshl_add_u64 v[0:1], v[0:1], 3, v[10:11]
	v_add_u32_e32 v7, 0x82, v54
	global_store_dwordx2 v[0:1], v[2:3], off
	v_mad_u64_u32 v[4:5], s[0:1], s4, v7, 0
	ds_read2_b64 v[0:3], v12 offset0:130 offset1:143
	v_mov_b32_e32 v6, v5
	v_mad_u64_u32 v[6:7], s[0:1], s5, v7, v[6:7]
	v_mov_b32_e32 v5, v6
	v_lshl_add_u64 v[4:5], v[4:5], 3, v[10:11]
	s_waitcnt lgkmcnt(0)
	global_store_dwordx2 v[4:5], v[0:1], off
	v_add_u32_e32 v5, 0x8f, v54
	v_mad_u64_u32 v[0:1], s[0:1], s4, v5, 0
	v_mov_b32_e32 v4, v1
	v_mad_u64_u32 v[4:5], s[0:1], s5, v5, v[4:5]
	v_mov_b32_e32 v1, v4
	v_lshl_add_u64 v[0:1], v[0:1], 3, v[10:11]
	global_store_dwordx2 v[0:1], v[2:3], off
	v_add_u32_e32 v3, 0x9c, v54
	v_mad_u64_u32 v[0:1], s[0:1], s4, v3, 0
	ds_read_b64 v[4:5], v12 offset:1248
	v_mov_b32_e32 v2, v1
	v_mad_u64_u32 v[2:3], s[0:1], s5, v3, v[2:3]
	v_mov_b32_e32 v1, v2
	v_lshl_add_u64 v[0:1], v[0:1], 3, v[10:11]
	s_waitcnt lgkmcnt(0)
	global_store_dwordx2 v[0:1], v[4:5], off
.LBB0_16:
	s_endpgm
	.section	.rodata,"a",@progbits
	.p2align	6, 0x0
	.amdhsa_kernel fft_rtc_back_len169_factors_13_13_wgs_156_tpt_13_sp_op_CI_CI_sbcc
		.amdhsa_group_segment_fixed_size 0
		.amdhsa_private_segment_fixed_size 0
		.amdhsa_kernarg_size 112
		.amdhsa_user_sgpr_count 2
		.amdhsa_user_sgpr_dispatch_ptr 0
		.amdhsa_user_sgpr_queue_ptr 0
		.amdhsa_user_sgpr_kernarg_segment_ptr 1
		.amdhsa_user_sgpr_dispatch_id 0
		.amdhsa_user_sgpr_kernarg_preload_length 0
		.amdhsa_user_sgpr_kernarg_preload_offset 0
		.amdhsa_user_sgpr_private_segment_size 0
		.amdhsa_uses_dynamic_stack 0
		.amdhsa_enable_private_segment 0
		.amdhsa_system_sgpr_workgroup_id_x 1
		.amdhsa_system_sgpr_workgroup_id_y 0
		.amdhsa_system_sgpr_workgroup_id_z 0
		.amdhsa_system_sgpr_workgroup_info 0
		.amdhsa_system_vgpr_workitem_id 0
		.amdhsa_next_free_vgpr 163
		.amdhsa_next_free_sgpr 55
		.amdhsa_accum_offset 164
		.amdhsa_reserve_vcc 1
		.amdhsa_float_round_mode_32 0
		.amdhsa_float_round_mode_16_64 0
		.amdhsa_float_denorm_mode_32 3
		.amdhsa_float_denorm_mode_16_64 3
		.amdhsa_dx10_clamp 1
		.amdhsa_ieee_mode 1
		.amdhsa_fp16_overflow 0
		.amdhsa_tg_split 0
		.amdhsa_exception_fp_ieee_invalid_op 0
		.amdhsa_exception_fp_denorm_src 0
		.amdhsa_exception_fp_ieee_div_zero 0
		.amdhsa_exception_fp_ieee_overflow 0
		.amdhsa_exception_fp_ieee_underflow 0
		.amdhsa_exception_fp_ieee_inexact 0
		.amdhsa_exception_int_div_zero 0
	.end_amdhsa_kernel
	.text
.Lfunc_end0:
	.size	fft_rtc_back_len169_factors_13_13_wgs_156_tpt_13_sp_op_CI_CI_sbcc, .Lfunc_end0-fft_rtc_back_len169_factors_13_13_wgs_156_tpt_13_sp_op_CI_CI_sbcc
                                        ; -- End function
	.section	.AMDGPU.csdata,"",@progbits
; Kernel info:
; codeLenInByte = 8652
; NumSgprs: 61
; NumVgprs: 163
; NumAgprs: 0
; TotalNumVgprs: 163
; ScratchSize: 0
; MemoryBound: 0
; FloatMode: 240
; IeeeMode: 1
; LDSByteSize: 0 bytes/workgroup (compile time only)
; SGPRBlocks: 7
; VGPRBlocks: 20
; NumSGPRsForWavesPerEU: 61
; NumVGPRsForWavesPerEU: 163
; AccumOffset: 164
; Occupancy: 3
; WaveLimiterHint : 1
; COMPUTE_PGM_RSRC2:SCRATCH_EN: 0
; COMPUTE_PGM_RSRC2:USER_SGPR: 2
; COMPUTE_PGM_RSRC2:TRAP_HANDLER: 0
; COMPUTE_PGM_RSRC2:TGID_X_EN: 1
; COMPUTE_PGM_RSRC2:TGID_Y_EN: 0
; COMPUTE_PGM_RSRC2:TGID_Z_EN: 0
; COMPUTE_PGM_RSRC2:TIDIG_COMP_CNT: 0
; COMPUTE_PGM_RSRC3_GFX90A:ACCUM_OFFSET: 40
; COMPUTE_PGM_RSRC3_GFX90A:TG_SPLIT: 0
	.text
	.p2alignl 6, 3212836864
	.fill 256, 4, 3212836864
	.type	__hip_cuid_3af80352eb56e636,@object ; @__hip_cuid_3af80352eb56e636
	.section	.bss,"aw",@nobits
	.globl	__hip_cuid_3af80352eb56e636
__hip_cuid_3af80352eb56e636:
	.byte	0                               ; 0x0
	.size	__hip_cuid_3af80352eb56e636, 1

	.ident	"AMD clang version 19.0.0git (https://github.com/RadeonOpenCompute/llvm-project roc-6.4.0 25133 c7fe45cf4b819c5991fe208aaa96edf142730f1d)"
	.section	".note.GNU-stack","",@progbits
	.addrsig
	.addrsig_sym __hip_cuid_3af80352eb56e636
	.amdgpu_metadata
---
amdhsa.kernels:
  - .agpr_count:     0
    .args:
      - .actual_access:  read_only
        .address_space:  global
        .offset:         0
        .size:           8
        .value_kind:     global_buffer
      - .address_space:  global
        .offset:         8
        .size:           8
        .value_kind:     global_buffer
      - .offset:         16
        .size:           8
        .value_kind:     by_value
      - .actual_access:  read_only
        .address_space:  global
        .offset:         24
        .size:           8
        .value_kind:     global_buffer
      - .actual_access:  read_only
        .address_space:  global
        .offset:         32
        .size:           8
        .value_kind:     global_buffer
      - .actual_access:  read_only
        .address_space:  global
        .offset:         40
        .size:           8
        .value_kind:     global_buffer
      - .offset:         48
        .size:           8
        .value_kind:     by_value
      - .actual_access:  read_only
        .address_space:  global
        .offset:         56
        .size:           8
        .value_kind:     global_buffer
      - .actual_access:  read_only
        .address_space:  global
        .offset:         64
        .size:           8
        .value_kind:     global_buffer
      - .offset:         72
        .size:           4
        .value_kind:     by_value
      - .actual_access:  read_only
        .address_space:  global
        .offset:         80
        .size:           8
        .value_kind:     global_buffer
      - .actual_access:  read_only
        .address_space:  global
        .offset:         88
        .size:           8
        .value_kind:     global_buffer
      - .actual_access:  read_only
        .address_space:  global
        .offset:         96
        .size:           8
        .value_kind:     global_buffer
      - .actual_access:  write_only
        .address_space:  global
        .offset:         104
        .size:           8
        .value_kind:     global_buffer
    .group_segment_fixed_size: 0
    .kernarg_segment_align: 8
    .kernarg_segment_size: 112
    .language:       OpenCL C
    .language_version:
      - 2
      - 0
    .max_flat_workgroup_size: 156
    .name:           fft_rtc_back_len169_factors_13_13_wgs_156_tpt_13_sp_op_CI_CI_sbcc
    .private_segment_fixed_size: 0
    .sgpr_count:     61
    .sgpr_spill_count: 0
    .symbol:         fft_rtc_back_len169_factors_13_13_wgs_156_tpt_13_sp_op_CI_CI_sbcc.kd
    .uniform_work_group_size: 1
    .uses_dynamic_stack: false
    .vgpr_count:     163
    .vgpr_spill_count: 0
    .wavefront_size: 64
amdhsa.target:   amdgcn-amd-amdhsa--gfx950
amdhsa.version:
  - 1
  - 2
...

	.end_amdgpu_metadata
